;; amdgpu-corpus repo=ROCm/rocFFT kind=compiled arch=gfx1100 opt=O3
	.text
	.amdgcn_target "amdgcn-amd-amdhsa--gfx1100"
	.amdhsa_code_object_version 6
	.protected	bluestein_single_back_len2000_dim1_dp_op_CI_CI ; -- Begin function bluestein_single_back_len2000_dim1_dp_op_CI_CI
	.globl	bluestein_single_back_len2000_dim1_dp_op_CI_CI
	.p2align	8
	.type	bluestein_single_back_len2000_dim1_dp_op_CI_CI,@function
bluestein_single_back_len2000_dim1_dp_op_CI_CI: ; @bluestein_single_back_len2000_dim1_dp_op_CI_CI
; %bb.0:
	s_load_b128 s[8:11], s[0:1], 0x28
	v_mul_u32_u24_e32 v1, 0x20d, v0
	s_mov_b32 s2, exec_lo
	v_mov_b32_e32 v10, 0
	s_delay_alu instid0(VALU_DEP_2) | instskip(NEXT) | instid1(VALU_DEP_1)
	v_lshrrev_b32_e32 v1, 16, v1
	v_add_nc_u32_e32 v9, s15, v1
	s_waitcnt lgkmcnt(0)
	s_delay_alu instid0(VALU_DEP_1)
	v_cmpx_gt_u64_e64 s[8:9], v[9:10]
	s_cbranch_execz .LBB0_31
; %bb.1:
	s_clause 0x1
	s_load_b128 s[4:7], s[0:1], 0x18
	s_load_b64 s[2:3], s[0:1], 0x0
	v_mul_lo_u16 v1, 0x7d, v1
	v_mov_b32_e32 v7, v9
	s_delay_alu instid0(VALU_DEP_2) | instskip(NEXT) | instid1(VALU_DEP_1)
	v_sub_nc_u16 v2, v0, v1
	v_and_b32_e32 v221, 0xffff, v2
	s_delay_alu instid0(VALU_DEP_1)
	v_lshlrev_b32_e32 v88, 4, v221
	s_waitcnt lgkmcnt(0)
	s_load_b128 s[12:15], s[4:5], 0x0
	s_clause 0x2
	global_load_b128 v[128:131], v88, s[2:3]
	global_load_b128 v[132:135], v88, s[2:3] offset:2000
	global_load_b128 v[136:139], v88, s[2:3] offset:4000
	v_add_co_u32 v90, s4, s2, v88
	s_delay_alu instid0(VALU_DEP_1) | instskip(NEXT) | instid1(VALU_DEP_2)
	v_add_co_ci_u32_e64 v91, null, s3, 0, s4
	v_add_co_u32 v14, vcc_lo, 0x1000, v90
	s_delay_alu instid0(VALU_DEP_2)
	v_add_co_ci_u32_e32 v15, vcc_lo, 0, v91, vcc_lo
	v_add_co_u32 v12, vcc_lo, 0x3000, v90
	v_add_co_ci_u32_e32 v13, vcc_lo, 0, v91, vcc_lo
	v_add_co_u32 v57, vcc_lo, 0x4000, v90
	v_add_co_ci_u32_e32 v58, vcc_lo, 0, v91, vcc_lo
	s_waitcnt lgkmcnt(0)
	v_mad_u64_u32 v[0:1], null, s14, v9, 0
	v_add_co_u32 v10, vcc_lo, 0x6000, v90
	v_mad_u64_u32 v[3:4], null, s12, v221, 0
	v_add_co_ci_u32_e32 v11, vcc_lo, 0, v91, vcc_lo
	v_add_co_u32 v5, vcc_lo, 0x2000, v90
	s_clause 0x1
	scratch_store_b64 off, v[7:8], off offset:216
	scratch_store_b64 off, v[14:15], off offset:64
	v_mad_u64_u32 v[7:8], null, s15, v9, v[1:2]
	v_mad_u64_u32 v[8:9], null, s13, v221, v[4:5]
	v_add_co_ci_u32_e32 v6, vcc_lo, 0, v91, vcc_lo
	v_add_co_u32 v59, vcc_lo, 0x5000, v90
	s_delay_alu instid0(VALU_DEP_4) | instskip(SKIP_3) | instid1(VALU_DEP_3)
	v_mov_b32_e32 v1, v7
	v_add_co_ci_u32_e32 v60, vcc_lo, 0, v91, vcc_lo
	v_mov_b32_e32 v4, v8
	s_mul_i32 s3, s13, 0x190
	v_lshlrev_b64 v[0:1], 4, v[0:1]
	s_mul_hi_u32 s4, s12, 0x190
	s_mul_i32 s2, s12, 0x190
	v_lshlrev_b64 v[3:4], 4, v[3:4]
	s_add_i32 s3, s4, s3
	s_clause 0x1
	global_load_b128 v[164:167], v[14:15], off offset:2304
	global_load_b128 v[156:159], v[12:13], off offset:512
	v_add_co_u32 v0, vcc_lo, s10, v0
	v_add_co_ci_u32_e32 v1, vcc_lo, s11, v1, vcc_lo
	s_lshl_b64 s[10:11], s[2:3], 4
	s_delay_alu instid0(VALU_DEP_2) | instskip(NEXT) | instid1(VALU_DEP_2)
	v_add_co_u32 v0, vcc_lo, v0, v3
	v_add_co_ci_u32_e32 v1, vcc_lo, v1, v4, vcc_lo
	s_clause 0x1
	global_load_b128 v[160:163], v[57:58], off offset:2816
	global_load_b128 v[152:155], v[10:11], off offset:1024
	v_add_co_u32 v7, vcc_lo, v0, s10
	v_add_co_ci_u32_e32 v8, vcc_lo, s11, v1, vcc_lo
	scratch_store_b64 off, v[12:13], off offset:56 ; 8-byte Folded Spill
	s_clause 0x1
	global_load_b128 v[148:151], v[12:13], off offset:2512
	global_load_b128 v[140:143], v[59:60], off offset:720
	scratch_store_b64 off, v[10:11], off offset:24 ; 8-byte Folded Spill
	global_load_b128 v[144:147], v[10:11], off offset:3024
	v_add_co_u32 v11, vcc_lo, v7, s10
	v_add_co_ci_u32_e32 v12, vcc_lo, s11, v8, vcc_lo
	s_mul_hi_u32 s8, s12, 0xfffffa3d
	s_delay_alu instid0(VALU_DEP_2) | instskip(NEXT) | instid1(VALU_DEP_2)
	v_add_co_u32 v15, vcc_lo, v11, s10
	v_add_co_ci_u32_e32 v16, vcc_lo, s11, v12, vcc_lo
	s_mul_i32 s5, s13, 0xfffffa3d
	s_sub_i32 s3, s8, s12
	s_delay_alu instid0(VALU_DEP_2)
	v_add_co_u32 v19, vcc_lo, v15, s10
	s_mul_i32 s2, s12, 0xfffffa3d
	s_add_i32 s3, s3, s5
	v_add_co_ci_u32_e32 v20, vcc_lo, s11, v16, vcc_lo
	s_lshl_b64 s[2:3], s[2:3], 4
	s_clause 0x1
	global_load_b128 v[168:171], v[5:6], off offset:208
	global_load_b128 v[172:175], v[5:6], off offset:2208
	v_add_co_u32 v23, vcc_lo, v19, s2
	v_add_co_ci_u32_e32 v24, vcc_lo, s3, v20, vcc_lo
	s_clause 0x1
	global_load_b128 v[3:6], v[0:1], off
	global_load_b128 v[7:10], v[7:8], off
	v_add_co_u32 v27, vcc_lo, v23, s10
	v_add_co_ci_u32_e32 v28, vcc_lo, s11, v24, vcc_lo
	s_clause 0x1
	global_load_b128 v[11:14], v[11:12], off
	global_load_b128 v[15:18], v[15:16], off
	v_add_co_u32 v0, vcc_lo, v27, s10
	v_add_co_ci_u32_e32 v1, vcc_lo, s11, v28, vcc_lo
	global_load_b128 v[19:22], v[19:20], off
	v_add_co_u32 v35, vcc_lo, v0, s10
	v_add_co_ci_u32_e32 v36, vcc_lo, s11, v1, vcc_lo
	;; [unrolled: 3-line block ×5, first 2 shown]
	s_delay_alu instid0(VALU_DEP_2) | instskip(NEXT) | instid1(VALU_DEP_2)
	v_add_co_u32 v0, vcc_lo, v47, s10
	v_add_co_ci_u32_e32 v1, vcc_lo, s11, v48, vcc_lo
	global_load_b128 v[35:38], v[35:36], off
	global_load_b128 v[39:42], v[39:40], off
	;; [unrolled: 1-line block ×5, first 2 shown]
	v_add_co_u32 v55, vcc_lo, v0, s10
	v_add_co_ci_u32_e32 v56, vcc_lo, s11, v1, vcc_lo
	v_add_co_u32 v61, vcc_lo, 0x7000, v90
	v_add_co_ci_u32_e32 v62, vcc_lo, 0, v91, vcc_lo
	s_delay_alu instid0(VALU_DEP_4) | instskip(NEXT) | instid1(VALU_DEP_4)
	v_add_co_u32 v0, vcc_lo, v55, s10
	v_add_co_ci_u32_e32 v1, vcc_lo, s11, v56, vcc_lo
	scratch_store_b64 off, v[57:58], off offset:32 ; 8-byte Folded Spill
	global_load_b128 v[176:179], v[57:58], off offset:416
	global_load_b128 v[55:58], v[55:56], off
	global_load_b128 v[180:183], v[59:60], off offset:2720
	scratch_store_b64 off, v[61:62], off    ; 8-byte Folded Spill
	global_load_b128 v[184:187], v[61:62], off offset:928
	global_load_b128 v[59:62], v[0:1], off
	v_cmp_gt_u16_e32 vcc_lo, 25, v2
	s_waitcnt vmcnt(29)
	scratch_store_b128 off, v[128:131], off offset:8 ; 16-byte Folded Spill
	s_waitcnt vmcnt(28)
	scratch_store_b128 off, v[132:135], off offset:40 ; 16-byte Folded Spill
	;; [unrolled: 2-line block ×12, first 2 shown]
	s_waitcnt vmcnt(17)
	v_mul_f64 v[63:64], v[5:6], v[130:131]
	v_mul_f64 v[65:66], v[3:4], v[130:131]
	s_waitcnt vmcnt(16)
	v_mul_f64 v[67:68], v[9:10], v[166:167]
	v_mul_f64 v[69:70], v[7:8], v[166:167]
	s_waitcnt vmcnt(15)
	v_mul_f64 v[71:72], v[13:14], v[158:159]
	s_waitcnt vmcnt(14)
	v_mul_f64 v[75:76], v[17:18], v[162:163]
	v_mul_f64 v[77:78], v[15:16], v[162:163]
	;; [unrolled: 1-line block ×3, first 2 shown]
	s_waitcnt vmcnt(13)
	v_mul_f64 v[79:80], v[21:22], v[154:155]
	v_mul_f64 v[81:82], v[19:20], v[154:155]
	s_waitcnt vmcnt(12)
	v_mul_f64 v[96:97], v[33:34], v[150:151]
	v_mul_f64 v[98:99], v[31:32], v[150:151]
	;; [unrolled: 3-line block ×8, first 2 shown]
	v_fma_f64 v[3:4], v[3:4], v[128:129], v[63:64]
	v_fma_f64 v[5:6], v[5:6], v[128:129], -v[65:66]
	v_fma_f64 v[7:8], v[7:8], v[164:165], v[67:68]
	v_fma_f64 v[11:12], v[11:12], v[156:157], v[71:72]
	;; [unrolled: 1-line block ×3, first 2 shown]
	v_fma_f64 v[17:18], v[17:18], v[160:161], -v[77:78]
	v_fma_f64 v[13:14], v[13:14], v[156:157], -v[73:74]
	;; [unrolled: 1-line block ×3, first 2 shown]
	s_waitcnt vmcnt(4)
	v_mul_f64 v[116:117], v[53:54], v[178:179]
	v_mul_f64 v[118:119], v[51:52], v[178:179]
	s_waitcnt vmcnt(2)
	v_mul_f64 v[120:121], v[57:58], v[182:183]
	v_mul_f64 v[122:123], v[55:56], v[182:183]
	;; [unrolled: 3-line block ×3, first 2 shown]
	v_fma_f64 v[31:32], v[31:32], v[148:149], v[96:97]
	v_fma_f64 v[33:34], v[33:34], v[148:149], -v[98:99]
	v_fma_f64 v[19:20], v[19:20], v[152:153], v[79:80]
	v_fma_f64 v[21:22], v[21:22], v[152:153], -v[81:82]
	s_clause 0x1
	scratch_store_b128 off, v[176:179], off offset:244
	scratch_store_b128 off, v[180:183], off offset:260
	v_fma_f64 v[23:24], v[23:24], v[132:133], v[83:84]
	v_fma_f64 v[25:26], v[25:26], v[132:133], -v[85:86]
	scratch_store_b128 off, v[184:187], off offset:276 ; 16-byte Folded Spill
	s_load_b64 s[8:9], s[0:1], 0x38
	s_load_b128 s[4:7], s[6:7], 0x0
	v_fma_f64 v[27:28], v[27:28], v[168:169], v[92:93]
	v_fma_f64 v[29:30], v[29:30], v[168:169], -v[94:95]
	v_fma_f64 v[35:36], v[35:36], v[140:141], v[100:101]
	v_fma_f64 v[37:38], v[37:38], v[140:141], -v[102:103]
	;; [unrolled: 2-line block ×5, first 2 shown]
	ds_store_b128 v88, v[3:6]
	ds_store_b128 v88, v[23:26] offset:2000
	ds_store_b128 v88, v[11:14] offset:12800
	;; [unrolled: 1-line block ×9, first 2 shown]
	v_fma_f64 v[51:52], v[51:52], v[176:177], v[116:117]
	v_fma_f64 v[53:54], v[53:54], v[176:177], -v[118:119]
	v_fma_f64 v[55:56], v[55:56], v[180:181], v[120:121]
	v_fma_f64 v[57:58], v[57:58], v[180:181], -v[122:123]
	;; [unrolled: 2-line block ×3, first 2 shown]
	ds_store_b128 v88, v[15:18] offset:19200
	ds_store_b128 v88, v[51:54] offset:16800
	;; [unrolled: 1-line block ×5, first 2 shown]
	s_and_saveexec_b32 s12, vcc_lo
	s_cbranch_execz .LBB0_3
; %bb.2:
	v_add_co_u32 v0, s2, v0, s2
	s_delay_alu instid0(VALU_DEP_1) | instskip(NEXT) | instid1(VALU_DEP_2)
	v_add_co_ci_u32_e64 v1, s2, s3, v1, s2
	v_add_co_u32 v8, s2, v0, s10
	s_delay_alu instid0(VALU_DEP_1) | instskip(SKIP_3) | instid1(VALU_DEP_1)
	v_add_co_ci_u32_e64 v9, s2, s11, v1, s2
	global_load_b128 v[0:3], v[0:1], off
	global_load_b128 v[4:7], v[8:9], off
	v_add_co_u32 v16, s2, v8, s10
	v_add_co_ci_u32_e64 v17, s2, s11, v9, s2
	scratch_load_b64 v[8:9], off, off offset:64 ; 8-byte Folded Reload
	v_add_co_u32 v24, s2, v16, s10
	s_delay_alu instid0(VALU_DEP_1)
	v_add_co_ci_u32_e64 v25, s2, s11, v17, s2
	s_waitcnt vmcnt(0)
	global_load_b128 v[8:11], v[8:9], off offset:1904
	s_clause 0x1
	scratch_load_b64 v[12:13], off, off offset:56
	scratch_load_b64 v[20:21], off, off offset:32
	v_add_co_u32 v36, s2, v24, s10
	global_load_b128 v[16:19], v[16:17], off
	v_add_co_ci_u32_e64 v37, s2, s11, v25, s2
	s_waitcnt vmcnt(3)
	v_mul_f64 v[40:41], v[2:3], v[10:11]
	s_waitcnt vmcnt(2)
	global_load_b128 v[12:15], v[12:13], off offset:112
	s_waitcnt vmcnt(2)
	global_load_b128 v[20:23], v[20:21], off offset:2416
	global_load_b128 v[24:27], v[24:25], off
	scratch_load_b64 v[28:29], off, off offset:24 ; 8-byte Folded Reload
	v_mul_f64 v[10:11], v[0:1], v[10:11]
	s_waitcnt vmcnt(0)
	global_load_b128 v[28:31], v[28:29], off offset:624
	scratch_load_b64 v[32:33], off, off     ; 8-byte Folded Reload
	v_mul_f64 v[42:43], v[6:7], v[14:15]
	v_mul_f64 v[14:15], v[4:5], v[14:15]
	;; [unrolled: 1-line block ×4, first 2 shown]
	v_fma_f64 v[0:1], v[0:1], v[8:9], v[40:41]
	v_fma_f64 v[2:3], v[2:3], v[8:9], -v[10:11]
	s_waitcnt vmcnt(0)
	global_load_b128 v[32:35], v[32:33], off offset:2928
	global_load_b128 v[36:39], v[36:37], off
	v_mul_f64 v[46:47], v[26:27], v[30:31]
	v_mul_f64 v[30:31], v[24:25], v[30:31]
	v_fma_f64 v[4:5], v[4:5], v[12:13], v[42:43]
	v_fma_f64 v[6:7], v[6:7], v[12:13], -v[14:15]
	v_fma_f64 v[8:9], v[16:17], v[20:21], v[44:45]
	v_fma_f64 v[10:11], v[18:19], v[20:21], -v[22:23]
	;; [unrolled: 2-line block ×3, first 2 shown]
	s_waitcnt vmcnt(0)
	v_mul_f64 v[48:49], v[38:39], v[34:35]
	v_mul_f64 v[34:35], v[36:37], v[34:35]
	s_delay_alu instid0(VALU_DEP_2) | instskip(NEXT) | instid1(VALU_DEP_2)
	v_fma_f64 v[16:17], v[36:37], v[32:33], v[48:49]
	v_fma_f64 v[18:19], v[38:39], v[32:33], -v[34:35]
	ds_store_b128 v88, v[0:3] offset:6000
	ds_store_b128 v88, v[4:7] offset:12400
	;; [unrolled: 1-line block ×5, first 2 shown]
.LBB0_3:
	s_or_b32 exec_lo, exec_lo, s12
	s_waitcnt lgkmcnt(0)
	s_waitcnt_vscnt null, 0x0
	s_barrier
	buffer_gl0_inv
	ds_load_b128 v[4:7], v88
	ds_load_b128 v[8:11], v88 offset:2000
	ds_load_b128 v[72:75], v88 offset:12800
	;; [unrolled: 1-line block ×14, first 2 shown]
                                        ; implicit-def: $vgpr16_vgpr17
                                        ; implicit-def: $vgpr20_vgpr21
                                        ; implicit-def: $vgpr32_vgpr33
                                        ; implicit-def: $vgpr40_vgpr41
                                        ; implicit-def: $vgpr44_vgpr45
	s_and_saveexec_b32 s2, vcc_lo
	s_cbranch_execz .LBB0_5
; %bb.4:
	ds_load_b128 v[16:19], v88 offset:6000
	ds_load_b128 v[20:23], v88 offset:12400
	;; [unrolled: 1-line block ×5, first 2 shown]
.LBB0_5:
	s_or_b32 exec_lo, exec_lo, s2
	s_waitcnt lgkmcnt(8)
	v_add_f64 v[80:81], v[4:5], v[76:77]
	v_add_f64 v[82:83], v[6:7], v[78:79]
	s_waitcnt lgkmcnt(4)
	v_add_f64 v[84:85], v[72:73], v[68:69]
	v_add_f64 v[92:93], v[76:77], -v[72:73]
	v_add_f64 v[94:95], v[72:73], -v[76:77]
	v_add_f64 v[102:103], v[76:77], v[64:65]
	v_add_f64 v[76:77], v[76:77], -v[64:65]
	v_add_f64 v[104:105], v[64:65], -v[68:69]
	;; [unrolled: 1-line block ×3, first 2 shown]
	v_add_f64 v[96:97], v[74:75], v[70:71]
	v_add_f64 v[98:99], v[78:79], -v[74:75]
	v_add_f64 v[100:101], v[78:79], -v[66:67]
	;; [unrolled: 1-line block ×3, first 2 shown]
	s_waitcnt lgkmcnt(2)
	v_add_f64 v[108:109], v[52:53], v[56:57]
	v_add_f64 v[112:113], v[60:61], -v[52:53]
	v_add_f64 v[114:115], v[52:53], -v[60:61]
	v_add_f64 v[122:123], v[60:61], v[48:49]
	v_add_f64 v[124:125], v[48:49], -v[56:57]
	v_add_f64 v[110:111], v[54:55], -v[58:59]
	;; [unrolled: 3-line block ×3, first 2 shown]
	v_add_f64 v[126:127], v[50:51], -v[58:59]
	s_waitcnt lgkmcnt(1)
	v_add_f64 v[128:129], v[36:37], v[24:25]
	v_add_f64 v[132:133], v[28:29], -v[36:37]
	v_add_f64 v[134:135], v[36:37], -v[28:29]
	;; [unrolled: 1-line block ×4, first 2 shown]
	v_add_f64 v[136:137], v[38:39], v[26:27]
	v_add_f64 v[140:141], v[30:31], -v[38:39]
	v_add_f64 v[142:143], v[38:39], -v[30:31]
	s_waitcnt lgkmcnt(0)
	v_add_f64 v[146:147], v[28:29], v[0:1]
	v_add_f64 v[144:145], v[30:31], -v[2:3]
	v_add_f64 v[148:149], v[20:21], v[44:45]
	v_add_f64 v[150:151], v[22:23], -v[46:47]
	v_add_f64 v[152:153], v[20:21], -v[32:33]
	;; [unrolled: 1-line block ×3, first 2 shown]
	v_add_f64 v[156:157], v[22:23], v[46:47]
	v_add_f64 v[80:81], v[80:81], v[72:73]
	;; [unrolled: 1-line block ×3, first 2 shown]
	v_add_f64 v[72:73], v[72:73], -v[68:69]
	v_add_f64 v[74:75], v[74:75], -v[78:79]
	v_add_f64 v[78:79], v[78:79], v[66:67]
	v_add_f64 v[158:159], v[20:21], -v[44:45]
	v_add_f64 v[160:161], v[34:35], -v[22:23]
	;; [unrolled: 1-line block ×5, first 2 shown]
	s_mov_b32 s14, 0x134454ff
	s_mov_b32 s15, 0x3fee6f0e
	;; [unrolled: 1-line block ×4, first 2 shown]
	v_add_f64 v[162:163], v[34:35], v[42:43]
	v_add_f64 v[164:165], v[34:35], -v[42:43]
	v_add_f64 v[172:173], v[46:47], -v[42:43]
	v_add_f64 v[174:175], v[42:43], -v[46:47]
	s_mov_b32 s2, 0x4755a5e
	s_mov_b32 s3, 0x3fe2cf23
	;; [unrolled: 1-line block ×6, first 2 shown]
	s_barrier
	buffer_gl0_inv
	s_load_b64 s[0:1], s[0:1], 0x8
	v_add_co_u32 v89, null, 0x177, v221
	v_add_f64 v[80:81], v[80:81], v[68:69]
	v_add_f64 v[82:83], v[82:83], v[70:71]
	v_add_f64 v[68:69], v[68:69], -v[64:65]
	v_add_f64 v[70:71], v[70:71], -v[66:67]
	s_delay_alu instid0(VALU_DEP_4) | instskip(SKIP_4) | instid1(VALU_DEP_4)
	v_add_f64 v[64:65], v[80:81], v[64:65]
	v_add_f64 v[80:81], v[8:9], v[60:61]
	;; [unrolled: 1-line block ×4, first 2 shown]
	v_add_f64 v[60:61], v[60:61], -v[48:49]
	v_add_f64 v[80:81], v[80:81], v[52:53]
	v_add_f64 v[52:53], v[52:53], -v[56:57]
	s_delay_alu instid0(VALU_DEP_4)
	v_add_f64 v[82:83], v[82:83], v[54:55]
	v_add_f64 v[54:55], v[54:55], -v[62:63]
	v_add_f64 v[62:63], v[62:63], v[50:51]
	v_add_f64 v[80:81], v[80:81], v[56:57]
	v_add_f64 v[56:57], v[56:57], -v[48:49]
	v_add_f64 v[82:83], v[82:83], v[58:59]
	v_add_f64 v[58:59], v[58:59], -v[50:51]
	v_fma_f64 v[62:63], v[62:63], -0.5, v[10:11]
	v_add_f64 v[48:49], v[80:81], v[48:49]
	v_add_f64 v[80:81], v[12:13], v[28:29]
	;; [unrolled: 1-line block ×4, first 2 shown]
	v_add_f64 v[28:29], v[28:29], -v[0:1]
	v_add_f64 v[30:31], v[30:31], v[2:3]
	v_add_f64 v[58:59], v[54:55], v[58:59]
	v_add_f64 v[56:57], v[114:115], v[56:57]
	v_add_f64 v[80:81], v[80:81], v[36:37]
	v_add_f64 v[82:83], v[82:83], v[38:39]
	v_fma_f64 v[30:31], v[30:31], -0.5, v[14:15]
	s_delay_alu instid0(VALU_DEP_3) | instskip(SKIP_1) | instid1(VALU_DEP_4)
	v_add_f64 v[36:37], v[80:81], v[24:25]
	v_add_f64 v[80:81], v[0:1], -v[24:25]
	v_add_f64 v[38:39], v[82:83], v[26:27]
	v_add_f64 v[24:25], v[24:25], -v[0:1]
	v_add_f64 v[82:83], v[2:3], -v[26:27]
	v_add_f64 v[26:27], v[26:27], -v[2:3]
	v_add_f64 v[36:37], v[36:37], v[0:1]
	v_add_f64 v[0:1], v[16:17], v[20:21]
	;; [unrolled: 1-line block ×4, first 2 shown]
	v_add_f64 v[20:21], v[22:23], -v[34:35]
	v_add_f64 v[22:23], v[32:33], v[40:41]
	v_add_f64 v[24:25], v[134:135], v[24:25]
	v_add_f64 v[26:27], v[142:143], v[26:27]
	v_add_f64 v[0:1], v[0:1], v[32:33]
	v_fma_f64 v[32:33], v[84:85], -0.5, v[4:5]
	v_add_f64 v[2:3], v[2:3], v[34:35]
	v_fma_f64 v[34:35], v[102:103], -0.5, v[4:5]
	v_fma_f64 v[84:85], v[128:129], -0.5, v[12:13]
	;; [unrolled: 1-line block ×4, first 2 shown]
	v_add_f64 v[0:1], v[0:1], v[40:41]
	v_fma_f64 v[40:41], v[96:97], -0.5, v[6:7]
	v_add_f64 v[2:3], v[2:3], v[42:43]
	v_fma_f64 v[42:43], v[78:79], -0.5, v[6:7]
	v_fma_f64 v[96:97], v[146:147], -0.5, v[12:13]
	v_fma_f64 v[4:5], v[100:101], s[14:15], v[32:33]
	v_fma_f64 v[12:13], v[100:101], s[16:17], v[32:33]
	v_fma_f64 v[78:79], v[122:123], -0.5, v[8:9]
	v_fma_f64 v[122:123], v[156:157], -0.5, v[18:19]
	v_add_f64 v[32:33], v[94:95], v[68:69]
	v_fma_f64 v[68:69], v[52:53], s[14:15], v[62:63]
	v_add_f64 v[0:1], v[0:1], v[44:45]
	v_fma_f64 v[6:7], v[76:77], s[16:17], v[40:41]
	v_fma_f64 v[14:15], v[76:77], s[14:15], v[40:41]
	v_add_f64 v[2:3], v[2:3], v[46:47]
	v_fma_f64 v[44:45], v[108:109], -0.5, v[8:9]
	v_fma_f64 v[46:47], v[116:117], -0.5, v[10:11]
	v_add_f64 v[8:9], v[92:93], v[104:105]
	v_add_f64 v[10:11], v[98:99], v[106:107]
	v_fma_f64 v[4:5], v[86:87], s[2:3], v[4:5]
	v_fma_f64 v[12:13], v[86:87], s[10:11], v[12:13]
	v_fma_f64 v[108:109], v[148:149], -0.5, v[16:17]
	v_fma_f64 v[116:117], v[162:163], -0.5, v[18:19]
	v_fma_f64 v[16:17], v[72:73], s[14:15], v[42:43]
	v_fma_f64 v[18:19], v[72:73], s[16:17], v[42:43]
	;; [unrolled: 1-line block ×18, first 2 shown]
	v_add_f64 v[34:35], v[74:75], v[70:71]
	v_fma_f64 v[42:43], v[52:53], s[10:11], v[42:43]
	v_fma_f64 v[46:47], v[52:53], s[2:3], v[46:47]
	;; [unrolled: 1-line block ×12, first 2 shown]
	v_add_f64 v[18:19], v[118:119], v[126:127]
	v_fma_f64 v[60:61], v[60:61], s[2:3], v[52:53]
	v_fma_f64 v[62:63], v[138:139], s[10:11], v[62:63]
	;; [unrolled: 1-line block ×11, first 2 shown]
	v_add_f64 v[16:17], v[112:113], v[124:125]
	v_fma_f64 v[42:43], v[18:19], s[12:13], v[42:43]
	v_fma_f64 v[46:47], v[18:19], s[12:13], v[46:47]
	;; [unrolled: 1-line block ×5, first 2 shown]
	v_add_f64 v[84:85], v[160:161], v[174:175]
	v_fma_f64 v[40:41], v[110:111], s[2:3], v[40:41]
	v_fma_f64 v[44:45], v[110:111], s[10:11], v[44:45]
	;; [unrolled: 1-line block ×9, first 2 shown]
	v_add_f64 v[26:27], v[20:21], v[172:173]
	v_fma_f64 v[20:21], v[150:151], s[16:17], v[22:23]
	v_fma_f64 v[28:29], v[166:167], s[14:15], v[122:123]
	;; [unrolled: 1-line block ×3, first 2 shown]
	s_delay_alu instid0(VALU_DEP_3) | instskip(NEXT) | instid1(VALU_DEP_2)
	v_fma_f64 v[20:21], v[164:165], s[10:11], v[20:21]
	v_fma_f64 v[52:53], v[56:57], s[12:13], v[16:17]
	;; [unrolled: 1-line block ×3, first 2 shown]
	v_add_f64 v[16:17], v[132:133], v[80:81]
	v_add_f64 v[18:19], v[140:141], v[82:83]
	;; [unrolled: 1-line block ×3, first 2 shown]
	s_delay_alu instid0(VALU_DEP_3) | instskip(NEXT) | instid1(VALU_DEP_3)
	v_fma_f64 v[60:61], v[16:17], s[12:13], v[60:61]
	v_fma_f64 v[62:63], v[18:19], s[12:13], v[62:63]
	;; [unrolled: 1-line block ×6, first 2 shown]
	s_delay_alu instid0(VALU_DEP_2) | instskip(NEXT) | instid1(VALU_DEP_2)
	v_fma_f64 v[16:17], v[144:145], s[2:3], v[16:17]
	v_fma_f64 v[18:19], v[144:145], s[10:11], v[18:19]
	s_delay_alu instid0(VALU_DEP_2) | instskip(NEXT) | instid1(VALU_DEP_2)
	v_fma_f64 v[72:73], v[24:25], s[12:13], v[16:17]
	v_fma_f64 v[76:77], v[24:25], s[12:13], v[18:19]
	;; [unrolled: 1-line block ×5, first 2 shown]
	v_add_f64 v[24:25], v[152:153], v[168:169]
	s_delay_alu instid0(VALU_DEP_4) | instskip(NEXT) | instid1(VALU_DEP_4)
	v_fma_f64 v[16:17], v[164:165], s[2:3], v[16:17]
	v_fma_f64 v[18:19], v[166:167], s[10:11], v[18:19]
	s_delay_alu instid0(VALU_DEP_4) | instskip(NEXT) | instid1(VALU_DEP_4)
	v_fma_f64 v[22:23], v[166:167], s[2:3], v[22:23]
	v_fma_f64 v[20:21], v[24:25], s[12:13], v[20:21]
	;; [unrolled: 3-line block ×3, first 2 shown]
	s_delay_alu instid0(VALU_DEP_4) | instskip(SKIP_2) | instid1(VALU_DEP_2)
	v_fma_f64 v[22:23], v[26:27], s[12:13], v[22:23]
	v_fma_f64 v[24:25], v[164:165], s[16:17], v[108:109]
	;; [unrolled: 1-line block ×4, first 2 shown]
	s_delay_alu instid0(VALU_DEP_2)
	v_fma_f64 v[82:83], v[150:151], s[10:11], v[26:27]
	v_fma_f64 v[26:27], v[158:159], s[10:11], v[28:29]
	v_add_co_u32 v92, s2, 0x7d, v221
	v_add_co_u32 v112, s3, 0xfa, v221
	v_fma_f64 v[24:25], v[80:81], s[12:13], v[24:25]
	v_fma_f64 v[28:29], v[80:81], s[12:13], v[82:83]
	;; [unrolled: 1-line block ×3, first 2 shown]
	v_mul_lo_u16 v80, v221, 5
	s_delay_alu instid0(VALU_DEP_1) | instskip(NEXT) | instid1(VALU_DEP_1)
	v_and_b32_e32 v80, 0xffff, v80
	v_lshlrev_b32_e32 v80, 4, v80
	ds_store_b128 v80, v[64:67]
	ds_store_b128 v80, v[4:7] offset:16
	ds_store_b128 v80, v[12:15] offset:32
	;; [unrolled: 1-line block ×3, first 2 shown]
	v_mul_u32_u24_e32 v4, 5, v92
	scratch_store_b32 off, v80, off offset:376 ; 4-byte Folded Spill
	ds_store_b128 v80, v[8:11] offset:64
	v_lshlrev_b32_e32 v4, 4, v4
	ds_store_b128 v4, v[48:51]
	ds_store_b128 v4, v[40:43] offset:16
	ds_store_b128 v4, v[52:55] offset:32
	;; [unrolled: 1-line block ×3, first 2 shown]
	scratch_store_b32 off, v4, off offset:380 ; 4-byte Folded Spill
	ds_store_b128 v4, v[44:47] offset:64
	v_mul_u32_u24_e32 v4, 5, v112
	s_delay_alu instid0(VALU_DEP_1)
	v_lshlrev_b32_e32 v5, 4, v4
	v_add_co_ci_u32_e64 v4, null, 0, 0, s2
	v_add_co_ci_u32_e64 v4, null, 0, 0, s3
	v_mul_u32_u24_e32 v4, 5, v89
	ds_store_b128 v5, v[36:39]
	ds_store_b128 v5, v[60:63] offset:16
	ds_store_b128 v5, v[72:75] offset:32
	;; [unrolled: 1-line block ×4, first 2 shown]
	s_clause 0x1
	scratch_store_b32 off, v5, off offset:308
	scratch_store_b32 off, v4, off offset:476
	s_and_saveexec_b32 s2, vcc_lo
	s_cbranch_execz .LBB0_7
; %bb.6:
	v_mul_u32_u24_e32 v4, 5, v89
	s_delay_alu instid0(VALU_DEP_1)
	v_lshlrev_b32_e32 v4, 4, v4
	ds_store_b128 v4, v[0:3]
	ds_store_b128 v4, v[16:19] offset:16
	ds_store_b128 v4, v[24:27] offset:32
	;; [unrolled: 1-line block ×4, first 2 shown]
.LBB0_7:
	s_or_b32 exec_lo, exec_lo, s2
	s_waitcnt lgkmcnt(0)
	s_waitcnt_vscnt null, 0x0
	s_barrier
	buffer_gl0_inv
	ds_load_b128 v[12:15], v88
	ds_load_b128 v[8:11], v88 offset:2000
	ds_load_b128 v[68:71], v88 offset:12800
	;; [unrolled: 1-line block ×14, first 2 shown]
	s_and_saveexec_b32 s2, vcc_lo
	s_cbranch_execz .LBB0_9
; %bb.8:
	ds_load_b128 v[0:3], v88 offset:6000
	ds_load_b128 v[16:19], v88 offset:12400
	;; [unrolled: 1-line block ×5, first 2 shown]
.LBB0_9:
	s_or_b32 exec_lo, exec_lo, s2
	v_and_b32_e32 v93, 0xff, v221
	v_and_b32_e32 v94, 0xff, v92
	;; [unrolled: 1-line block ×4, first 2 shown]
	s_mov_b32 s12, 0x134454ff
	v_mul_lo_u16 v80, 0xcd, v93
	s_mov_b32 s13, 0x3fee6f0e
	s_mov_b32 s15, 0xbfee6f0e
	;; [unrolled: 1-line block ×4, first 2 shown]
	v_lshrrev_b16 v95, 10, v80
	s_mov_b32 s3, 0x3fe2cf23
	s_mov_b32 s10, s2
	;; [unrolled: 1-line block ×4, first 2 shown]
	v_mul_lo_u16 v80, v95, 5
	s_delay_alu instid0(VALU_DEP_1) | instskip(NEXT) | instid1(VALU_DEP_1)
	v_sub_nc_u16 v80, v221, v80
	v_and_b32_e32 v96, 0xff, v80
	s_delay_alu instid0(VALU_DEP_1)
	v_lshlrev_b32_e32 v84, 6, v96
	s_clause 0x3
	global_load_b128 v[108:111], v84, s[0:1]
	global_load_b128 v[136:139], v84, s[0:1] offset:16
	global_load_b128 v[132:135], v84, s[0:1] offset:32
	;; [unrolled: 1-line block ×3, first 2 shown]
	s_waitcnt vmcnt(3) lgkmcnt(8)
	v_mul_f64 v[80:81], v[78:79], v[110:111]
	s_delay_alu instid0(VALU_DEP_1) | instskip(SKIP_1) | instid1(VALU_DEP_1)
	v_fma_f64 v[80:81], v[76:77], v[108:109], -v[80:81]
	v_mul_f64 v[76:77], v[76:77], v[110:111]
	v_fma_f64 v[76:77], v[78:79], v[108:109], v[76:77]
	s_waitcnt vmcnt(2)
	v_mul_f64 v[78:79], v[70:71], v[138:139]
	s_delay_alu instid0(VALU_DEP_1) | instskip(SKIP_1) | instid1(VALU_DEP_1)
	v_fma_f64 v[78:79], v[68:69], v[136:137], -v[78:79]
	v_mul_f64 v[68:69], v[68:69], v[138:139]
	v_fma_f64 v[70:71], v[70:71], v[136:137], v[68:69]
	s_waitcnt vmcnt(1) lgkmcnt(4)
	v_mul_f64 v[68:69], v[74:75], v[134:135]
	s_delay_alu instid0(VALU_DEP_1) | instskip(SKIP_3) | instid1(VALU_DEP_3)
	v_fma_f64 v[82:83], v[72:73], v[132:133], -v[68:69]
	v_mul_f64 v[68:69], v[72:73], v[134:135]
	s_waitcnt vmcnt(0)
	v_mul_f64 v[72:73], v[64:65], v[130:131]
	v_add_f64 v[124:125], v[78:79], -v[82:83]
	s_delay_alu instid0(VALU_DEP_3) | instskip(NEXT) | instid1(VALU_DEP_3)
	v_fma_f64 v[68:69], v[74:75], v[132:133], v[68:69]
	v_fma_f64 v[72:73], v[66:67], v[128:129], v[72:73]
	v_mul_f64 v[66:67], v[66:67], v[130:131]
	s_delay_alu instid0(VALU_DEP_3) | instskip(NEXT) | instid1(VALU_DEP_3)
	v_add_f64 v[120:121], v[70:71], -v[68:69]
	v_add_f64 v[118:119], v[76:77], -v[72:73]
	s_delay_alu instid0(VALU_DEP_3) | instskip(SKIP_1) | instid1(VALU_DEP_1)
	v_fma_f64 v[86:87], v[64:65], v[128:129], -v[66:67]
	v_mul_lo_u16 v64, 0xcd, v94
	v_lshrrev_b16 v97, 10, v64
	s_delay_alu instid0(VALU_DEP_1) | instskip(NEXT) | instid1(VALU_DEP_1)
	v_mul_lo_u16 v64, v97, 5
	v_sub_nc_u16 v64, v92, v64
	s_delay_alu instid0(VALU_DEP_1) | instskip(NEXT) | instid1(VALU_DEP_1)
	v_and_b32_e32 v98, 0xff, v64
	v_lshlrev_b32_e32 v84, 6, v98
	s_clause 0x3
	global_load_b128 v[140:143], v84, s[0:1]
	global_load_b128 v[152:155], v84, s[0:1] offset:16
	global_load_b128 v[148:151], v84, s[0:1] offset:32
	;; [unrolled: 1-line block ×3, first 2 shown]
	v_add_f64 v[122:123], v[80:81], -v[86:87]
	s_waitcnt vmcnt(3)
	v_mul_f64 v[64:65], v[62:63], v[142:143]
	s_delay_alu instid0(VALU_DEP_1) | instskip(SKIP_1) | instid1(VALU_DEP_1)
	v_fma_f64 v[64:65], v[60:61], v[140:141], -v[64:65]
	v_mul_f64 v[60:61], v[60:61], v[142:143]
	v_fma_f64 v[60:61], v[62:63], v[140:141], v[60:61]
	s_waitcnt vmcnt(2)
	v_mul_f64 v[62:63], v[54:55], v[154:155]
	s_delay_alu instid0(VALU_DEP_1) | instskip(SKIP_1) | instid1(VALU_DEP_1)
	v_fma_f64 v[62:63], v[52:53], v[152:153], -v[62:63]
	v_mul_f64 v[52:53], v[52:53], v[154:155]
	v_fma_f64 v[66:67], v[54:55], v[152:153], v[52:53]
	s_waitcnt vmcnt(1) lgkmcnt(2)
	v_mul_f64 v[52:53], v[58:59], v[150:151]
	s_delay_alu instid0(VALU_DEP_1) | instskip(SKIP_1) | instid1(VALU_DEP_1)
	v_fma_f64 v[74:75], v[56:57], v[148:149], -v[52:53]
	v_mul_f64 v[52:53], v[56:57], v[150:151]
	v_fma_f64 v[56:57], v[58:59], v[148:149], v[52:53]
	s_waitcnt vmcnt(0)
	v_mul_f64 v[52:53], v[50:51], v[146:147]
	s_delay_alu instid0(VALU_DEP_1) | instskip(SKIP_1) | instid1(VALU_DEP_1)
	v_fma_f64 v[58:59], v[48:49], v[144:145], -v[52:53]
	v_mul_f64 v[48:49], v[48:49], v[146:147]
	v_fma_f64 v[84:85], v[50:51], v[144:145], v[48:49]
	v_mul_u32_u24_e32 v48, 0xcccd, v113
	s_delay_alu instid0(VALU_DEP_1) | instskip(NEXT) | instid1(VALU_DEP_1)
	v_lshrrev_b32_e32 v99, 18, v48
	v_mul_lo_u16 v48, v99, 5
	s_delay_alu instid0(VALU_DEP_1) | instskip(NEXT) | instid1(VALU_DEP_1)
	v_sub_nc_u16 v100, v112, v48
	v_lshlrev_b16 v48, 2, v100
	s_delay_alu instid0(VALU_DEP_1) | instskip(NEXT) | instid1(VALU_DEP_1)
	v_and_b32_e32 v48, 0xffff, v48
	v_lshlrev_b32_e32 v52, 4, v48
	s_clause 0x3
	global_load_b128 v[164:167], v52, s[0:1]
	global_load_b128 v[168:171], v52, s[0:1] offset:16
	global_load_b128 v[160:163], v52, s[0:1] offset:32
	;; [unrolled: 1-line block ×3, first 2 shown]
	s_waitcnt vmcnt(3)
	v_mul_f64 v[48:49], v[46:47], v[166:167]
	s_delay_alu instid0(VALU_DEP_1) | instskip(SKIP_1) | instid1(VALU_DEP_1)
	v_fma_f64 v[48:49], v[44:45], v[164:165], -v[48:49]
	v_mul_f64 v[44:45], v[44:45], v[166:167]
	v_fma_f64 v[44:45], v[46:47], v[164:165], v[44:45]
	s_waitcnt vmcnt(2)
	v_mul_f64 v[46:47], v[42:43], v[170:171]
	s_delay_alu instid0(VALU_DEP_1) | instskip(SKIP_1) | instid1(VALU_DEP_1)
	v_fma_f64 v[46:47], v[40:41], v[168:169], -v[46:47]
	v_mul_f64 v[40:41], v[40:41], v[170:171]
	v_fma_f64 v[42:43], v[42:43], v[168:169], v[40:41]
	s_waitcnt vmcnt(1) lgkmcnt(1)
	v_mul_f64 v[40:41], v[38:39], v[162:163]
	s_delay_alu instid0(VALU_DEP_1) | instskip(SKIP_1) | instid1(VALU_DEP_1)
	v_fma_f64 v[50:51], v[36:37], v[160:161], -v[40:41]
	v_mul_f64 v[36:37], v[36:37], v[162:163]
	v_fma_f64 v[40:41], v[38:39], v[160:161], v[36:37]
	s_waitcnt vmcnt(0) lgkmcnt(0)
	v_mul_f64 v[36:37], v[34:35], v[158:159]
	s_delay_alu instid0(VALU_DEP_1) | instskip(SKIP_1) | instid1(VALU_DEP_1)
	v_fma_f64 v[52:53], v[32:33], v[156:157], -v[36:37]
	v_mul_f64 v[32:33], v[32:33], v[158:159]
	v_fma_f64 v[54:55], v[34:35], v[156:157], v[32:33]
	v_mul_u32_u24_e32 v32, 0xcccd, v216
	s_delay_alu instid0(VALU_DEP_1) | instskip(NEXT) | instid1(VALU_DEP_1)
	v_lshrrev_b32_e32 v101, 18, v32
	v_mul_lo_u16 v32, v101, 5
	s_delay_alu instid0(VALU_DEP_1) | instskip(NEXT) | instid1(VALU_DEP_1)
	v_sub_nc_u16 v102, v89, v32
	v_lshlrev_b16 v32, 2, v102
	s_delay_alu instid0(VALU_DEP_1) | instskip(NEXT) | instid1(VALU_DEP_1)
	v_and_b32_e32 v32, 0xffff, v32
	v_lshlrev_b32_e32 v103, 4, v32
	s_clause 0x3
	global_load_b128 v[184:187], v103, s[0:1]
	global_load_b128 v[180:183], v103, s[0:1] offset:16
	global_load_b128 v[176:179], v103, s[0:1] offset:32
	;; [unrolled: 1-line block ×3, first 2 shown]
	s_waitcnt vmcnt(0)
	s_barrier
	buffer_gl0_inv
	v_mul_f64 v[32:33], v[18:19], v[186:187]
	s_delay_alu instid0(VALU_DEP_1) | instskip(SKIP_1) | instid1(VALU_DEP_1)
	v_fma_f64 v[34:35], v[16:17], v[184:185], -v[32:33]
	v_mul_f64 v[16:17], v[16:17], v[186:187]
	v_fma_f64 v[32:33], v[18:19], v[184:185], v[16:17]
	v_mul_f64 v[16:17], v[26:27], v[182:183]
	v_add_f64 v[18:19], v[86:87], -v[82:83]
	s_delay_alu instid0(VALU_DEP_2) | instskip(SKIP_1) | instid1(VALU_DEP_1)
	v_fma_f64 v[36:37], v[24:25], v[180:181], -v[16:17]
	v_mul_f64 v[16:17], v[24:25], v[182:183]
	v_fma_f64 v[26:27], v[26:27], v[180:181], v[16:17]
	v_mul_f64 v[16:17], v[30:31], v[178:179]
	s_delay_alu instid0(VALU_DEP_1) | instskip(SKIP_1) | instid1(VALU_DEP_1)
	v_fma_f64 v[38:39], v[28:29], v[176:177], -v[16:17]
	v_mul_f64 v[16:17], v[28:29], v[178:179]
	v_fma_f64 v[24:25], v[30:31], v[176:177], v[16:17]
	v_mul_f64 v[16:17], v[22:23], v[174:175]
	s_delay_alu instid0(VALU_DEP_1) | instskip(SKIP_2) | instid1(VALU_DEP_2)
	v_fma_f64 v[28:29], v[20:21], v[172:173], -v[16:17]
	v_mul_f64 v[16:17], v[20:21], v[174:175]
	v_add_f64 v[20:21], v[72:73], -v[68:69]
	v_fma_f64 v[30:31], v[22:23], v[172:173], v[16:17]
	v_add_f64 v[16:17], v[80:81], -v[78:79]
	v_add_f64 v[22:23], v[70:71], v[68:69]
	s_delay_alu instid0(VALU_DEP_2) | instskip(SKIP_1) | instid1(VALU_DEP_3)
	v_add_f64 v[16:17], v[16:17], v[18:19]
	v_add_f64 v[18:19], v[76:77], -v[70:71]
	v_fma_f64 v[22:23], v[22:23], -0.5, v[14:15]
	s_delay_alu instid0(VALU_DEP_2) | instskip(SKIP_1) | instid1(VALU_DEP_3)
	v_add_f64 v[18:19], v[18:19], v[20:21]
	v_add_f64 v[20:21], v[78:79], v[82:83]
	v_fma_f64 v[105:106], v[122:123], s[14:15], v[22:23]
	v_fma_f64 v[22:23], v[122:123], s[12:13], v[22:23]
	s_delay_alu instid0(VALU_DEP_3) | instskip(NEXT) | instid1(VALU_DEP_3)
	v_fma_f64 v[20:21], v[20:21], -0.5, v[12:13]
	v_fma_f64 v[105:106], v[124:125], s[10:11], v[105:106]
	s_delay_alu instid0(VALU_DEP_3) | instskip(NEXT) | instid1(VALU_DEP_3)
	v_fma_f64 v[22:23], v[124:125], s[2:3], v[22:23]
	v_fma_f64 v[103:104], v[118:119], s[12:13], v[20:21]
	s_delay_alu instid0(VALU_DEP_3) | instskip(SKIP_1) | instid1(VALU_DEP_4)
	v_fma_f64 v[105:106], v[18:19], s[16:17], v[105:106]
	v_fma_f64 v[20:21], v[118:119], s[14:15], v[20:21]
	;; [unrolled: 1-line block ×3, first 2 shown]
	v_add_f64 v[18:19], v[76:77], v[72:73]
	v_add_f64 v[22:23], v[70:71], -v[76:77]
	v_fma_f64 v[103:104], v[120:121], s[2:3], v[103:104]
	v_fma_f64 v[20:21], v[120:121], s[10:11], v[20:21]
	s_delay_alu instid0(VALU_DEP_4) | instskip(SKIP_1) | instid1(VALU_DEP_4)
	v_fma_f64 v[18:19], v[18:19], -0.5, v[14:15]
	v_add_f64 v[14:15], v[14:15], v[76:77]
	v_fma_f64 v[103:104], v[16:17], s[16:17], v[103:104]
	s_delay_alu instid0(VALU_DEP_4)
	v_fma_f64 v[114:115], v[16:17], s[16:17], v[20:21]
	v_add_f64 v[16:17], v[80:81], v[86:87]
	v_add_f64 v[20:21], v[78:79], -v[80:81]
	v_add_f64 v[14:15], v[14:15], v[70:71]
	v_add_f64 v[70:71], v[82:83], -v[86:87]
	v_fma_f64 v[76:77], v[124:125], s[12:13], v[18:19]
	v_fma_f64 v[18:19], v[124:125], s[14:15], v[18:19]
	v_add_f64 v[124:125], v[62:63], -v[74:75]
	v_fma_f64 v[16:17], v[16:17], -0.5, v[12:13]
	v_add_f64 v[12:13], v[12:13], v[80:81]
	v_add_f64 v[14:15], v[14:15], v[68:69]
	v_add_f64 v[68:69], v[68:69], -v[72:73]
	v_add_f64 v[20:21], v[20:21], v[70:71]
	v_fma_f64 v[18:19], v[122:123], s[2:3], v[18:19]
	v_fma_f64 v[70:71], v[122:123], s[10:11], v[76:77]
	v_add_f64 v[122:123], v[64:65], -v[58:59]
	v_add_f64 v[12:13], v[12:13], v[78:79]
	v_add_f64 v[14:15], v[14:15], v[72:73]
	v_fma_f64 v[72:73], v[120:121], s[14:15], v[16:17]
	v_fma_f64 v[16:17], v[120:121], s[12:13], v[16:17]
	v_add_f64 v[22:23], v[22:23], v[68:69]
	v_add_f64 v[12:13], v[12:13], v[82:83]
	s_delay_alu instid0(VALU_DEP_4) | instskip(NEXT) | instid1(VALU_DEP_4)
	v_fma_f64 v[68:69], v[118:119], s[2:3], v[72:73]
	v_fma_f64 v[16:17], v[118:119], s[10:11], v[16:17]
	s_delay_alu instid0(VALU_DEP_4)
	v_fma_f64 v[78:79], v[22:23], s[16:17], v[18:19]
	v_add_f64 v[18:19], v[58:59], -v[74:75]
	v_fma_f64 v[70:71], v[22:23], s[16:17], v[70:71]
	v_add_f64 v[22:23], v[66:67], v[56:57]
	v_add_f64 v[72:73], v[60:61], -v[84:85]
	v_add_f64 v[12:13], v[12:13], v[86:87]
	v_add_f64 v[86:87], v[66:67], -v[56:57]
	v_fma_f64 v[68:69], v[20:21], s[16:17], v[68:69]
	v_fma_f64 v[76:77], v[20:21], s[16:17], v[16:17]
	v_add_f64 v[16:17], v[64:65], -v[62:63]
	v_add_f64 v[20:21], v[84:85], -v[56:57]
	v_fma_f64 v[22:23], v[22:23], -0.5, v[10:11]
	s_delay_alu instid0(VALU_DEP_3) | instskip(SKIP_1) | instid1(VALU_DEP_3)
	v_add_f64 v[16:17], v[16:17], v[18:19]
	v_add_f64 v[18:19], v[60:61], -v[66:67]
	v_fma_f64 v[82:83], v[122:123], s[14:15], v[22:23]
	v_fma_f64 v[22:23], v[122:123], s[12:13], v[22:23]
	s_delay_alu instid0(VALU_DEP_3) | instskip(SKIP_1) | instid1(VALU_DEP_4)
	v_add_f64 v[18:19], v[18:19], v[20:21]
	v_add_f64 v[20:21], v[62:63], v[74:75]
	v_fma_f64 v[82:83], v[124:125], s[10:11], v[82:83]
	s_delay_alu instid0(VALU_DEP_4) | instskip(NEXT) | instid1(VALU_DEP_3)
	v_fma_f64 v[22:23], v[124:125], s[2:3], v[22:23]
	v_fma_f64 v[20:21], v[20:21], -0.5, v[8:9]
	s_delay_alu instid0(VALU_DEP_3) | instskip(NEXT) | instid1(VALU_DEP_3)
	v_fma_f64 v[82:83], v[18:19], s[16:17], v[82:83]
	v_fma_f64 v[120:121], v[18:19], s[16:17], v[22:23]
	v_add_f64 v[18:19], v[60:61], v[84:85]
	v_add_f64 v[22:23], v[66:67], -v[60:61]
	v_fma_f64 v[80:81], v[72:73], s[12:13], v[20:21]
	v_fma_f64 v[20:21], v[72:73], s[14:15], v[20:21]
	s_delay_alu instid0(VALU_DEP_4) | instskip(SKIP_1) | instid1(VALU_DEP_4)
	v_fma_f64 v[18:19], v[18:19], -0.5, v[10:11]
	v_add_f64 v[10:11], v[10:11], v[60:61]
	v_fma_f64 v[80:81], v[86:87], s[2:3], v[80:81]
	s_delay_alu instid0(VALU_DEP_4) | instskip(NEXT) | instid1(VALU_DEP_3)
	v_fma_f64 v[20:21], v[86:87], s[10:11], v[20:21]
	v_add_f64 v[10:11], v[10:11], v[66:67]
	v_add_f64 v[66:67], v[46:47], -v[50:51]
	s_delay_alu instid0(VALU_DEP_4) | instskip(NEXT) | instid1(VALU_DEP_4)
	v_fma_f64 v[80:81], v[16:17], s[16:17], v[80:81]
	v_fma_f64 v[118:119], v[16:17], s[16:17], v[20:21]
	v_add_f64 v[16:17], v[64:65], v[58:59]
	v_add_f64 v[20:21], v[62:63], -v[64:65]
	v_add_f64 v[10:11], v[10:11], v[56:57]
	s_delay_alu instid0(VALU_DEP_3) | instskip(SKIP_1) | instid1(VALU_DEP_3)
	v_fma_f64 v[16:17], v[16:17], -0.5, v[8:9]
	v_add_f64 v[8:9], v[8:9], v[64:65]
	v_add_f64 v[60:61], v[10:11], v[84:85]
	s_delay_alu instid0(VALU_DEP_3) | instskip(NEXT) | instid1(VALU_DEP_3)
	v_fma_f64 v[10:11], v[86:87], s[14:15], v[16:17]
	v_add_f64 v[8:9], v[8:9], v[62:63]
	v_add_f64 v[62:63], v[74:75], -v[58:59]
	v_fma_f64 v[16:17], v[86:87], s[12:13], v[16:17]
	s_delay_alu instid0(VALU_DEP_4) | instskip(NEXT) | instid1(VALU_DEP_4)
	v_fma_f64 v[10:11], v[72:73], s[2:3], v[10:11]
	v_add_f64 v[8:9], v[8:9], v[74:75]
	s_delay_alu instid0(VALU_DEP_4) | instskip(NEXT) | instid1(VALU_DEP_4)
	v_add_f64 v[20:21], v[20:21], v[62:63]
	v_fma_f64 v[16:17], v[72:73], s[10:11], v[16:17]
	s_delay_alu instid0(VALU_DEP_3)
	v_add_f64 v[58:59], v[8:9], v[58:59]
	v_add_f64 v[8:9], v[56:57], -v[84:85]
	v_fma_f64 v[56:57], v[124:125], s[12:13], v[18:19]
	v_fma_f64 v[18:19], v[124:125], s[14:15], v[18:19]
	;; [unrolled: 1-line block ×3, first 2 shown]
	v_add_f64 v[10:11], v[52:53], -v[50:51]
	v_fma_f64 v[72:73], v[20:21], s[16:17], v[16:17]
	v_add_f64 v[20:21], v[44:45], -v[54:55]
	v_add_f64 v[8:9], v[22:23], v[8:9]
	v_fma_f64 v[22:23], v[122:123], s[10:11], v[56:57]
	v_fma_f64 v[18:19], v[122:123], s[2:3], v[18:19]
	v_add_f64 v[56:57], v[48:49], -v[52:53]
	s_delay_alu instid0(VALU_DEP_3) | instskip(NEXT) | instid1(VALU_DEP_3)
	v_fma_f64 v[64:65], v[8:9], s[16:17], v[22:23]
	v_fma_f64 v[74:75], v[8:9], s[16:17], v[18:19]
	v_and_b32_e32 v8, 0xffff, v95
	v_add_f64 v[22:23], v[42:43], -v[40:41]
	s_delay_alu instid0(VALU_DEP_2) | instskip(NEXT) | instid1(VALU_DEP_1)
	v_mul_u32_u24_e32 v8, 25, v8
	v_add_lshl_u32 v95, v8, v96, 4
	v_add_f64 v[8:9], v[48:49], -v[46:47]
	ds_store_b128 v95, v[12:15]
	v_add_f64 v[12:13], v[54:55], -v[40:41]
	ds_store_b128 v95, v[103:106] offset:80
	ds_store_b128 v95, v[68:71] offset:160
	;; [unrolled: 1-line block ×3, first 2 shown]
	scratch_store_b32 off, v95, off offset:392 ; 4-byte Folded Spill
	ds_store_b128 v95, v[114:117] offset:320
	v_add_f64 v[8:9], v[8:9], v[10:11]
	v_add_f64 v[10:11], v[44:45], -v[42:43]
	s_delay_alu instid0(VALU_DEP_1) | instskip(SKIP_1) | instid1(VALU_DEP_1)
	v_add_f64 v[10:11], v[10:11], v[12:13]
	v_add_f64 v[12:13], v[46:47], v[50:51]
	v_fma_f64 v[16:17], v[12:13], -0.5, v[4:5]
	v_add_f64 v[12:13], v[42:43], v[40:41]
	s_delay_alu instid0(VALU_DEP_1) | instskip(NEXT) | instid1(VALU_DEP_3)
	v_fma_f64 v[18:19], v[12:13], -0.5, v[6:7]
	v_fma_f64 v[12:13], v[20:21], s[12:13], v[16:17]
	v_fma_f64 v[16:17], v[20:21], s[14:15], v[16:17]
	s_delay_alu instid0(VALU_DEP_3) | instskip(SKIP_1) | instid1(VALU_DEP_4)
	v_fma_f64 v[14:15], v[56:57], s[14:15], v[18:19]
	v_fma_f64 v[18:19], v[56:57], s[12:13], v[18:19]
	;; [unrolled: 1-line block ×3, first 2 shown]
	s_delay_alu instid0(VALU_DEP_4) | instskip(NEXT) | instid1(VALU_DEP_4)
	v_fma_f64 v[16:17], v[22:23], s[10:11], v[16:17]
	v_fma_f64 v[14:15], v[66:67], s[10:11], v[14:15]
	s_delay_alu instid0(VALU_DEP_4) | instskip(NEXT) | instid1(VALU_DEP_4)
	v_fma_f64 v[18:19], v[66:67], s[2:3], v[18:19]
	v_fma_f64 v[12:13], v[8:9], s[16:17], v[12:13]
	s_delay_alu instid0(VALU_DEP_4)
	v_fma_f64 v[84:85], v[8:9], s[16:17], v[16:17]
	v_add_f64 v[8:9], v[48:49], v[52:53]
	v_add_f64 v[16:17], v[46:47], -v[48:49]
	v_fma_f64 v[14:15], v[10:11], s[16:17], v[14:15]
	v_fma_f64 v[86:87], v[10:11], s[16:17], v[18:19]
	v_add_f64 v[10:11], v[44:45], v[54:55]
	v_add_f64 v[18:19], v[42:43], -v[44:45]
	v_fma_f64 v[8:9], v[8:9], -0.5, v[4:5]
	v_add_f64 v[4:5], v[4:5], v[48:49]
	v_add_f64 v[48:49], v[32:33], -v[30:31]
	v_fma_f64 v[10:11], v[10:11], -0.5, v[6:7]
	v_add_f64 v[6:7], v[6:7], v[44:45]
	v_fma_f64 v[44:45], v[22:23], s[14:15], v[8:9]
	v_fma_f64 v[8:9], v[22:23], s[12:13], v[8:9]
	v_add_f64 v[4:5], v[4:5], v[46:47]
	v_fma_f64 v[22:23], v[66:67], s[12:13], v[10:11]
	v_add_f64 v[6:7], v[6:7], v[42:43]
	v_add_f64 v[42:43], v[50:51], -v[52:53]
	v_fma_f64 v[10:11], v[66:67], s[14:15], v[10:11]
	v_fma_f64 v[8:9], v[20:21], s[10:11], v[8:9]
	v_add_f64 v[4:5], v[4:5], v[50:51]
	v_add_f64 v[50:51], v[26:27], -v[24:25]
	v_add_f64 v[6:7], v[6:7], v[40:41]
	v_add_f64 v[40:41], v[40:41], -v[54:55]
	v_add_f64 v[16:17], v[16:17], v[42:43]
	v_fma_f64 v[10:11], v[56:57], s[2:3], v[10:11]
	v_add_f64 v[4:5], v[4:5], v[52:53]
	v_add_f64 v[52:53], v[34:35], -v[28:29]
	v_add_f64 v[6:7], v[6:7], v[54:55]
	v_add_f64 v[18:19], v[18:19], v[40:41]
	v_fma_f64 v[40:41], v[20:21], s[2:3], v[44:45]
	v_fma_f64 v[44:45], v[16:17], s[16:17], v[8:9]
	v_add_f64 v[8:9], v[34:35], -v[36:37]
	v_fma_f64 v[20:21], v[56:57], s[10:11], v[22:23]
	v_add_f64 v[54:55], v[36:37], -v[38:39]
	;; [unrolled: 2-line block ×4, first 2 shown]
	v_fma_f64 v[42:43], v[18:19], s[16:17], v[20:21]
	s_delay_alu instid0(VALU_DEP_4) | instskip(SKIP_1) | instid1(VALU_DEP_1)
	v_add_f64 v[8:9], v[8:9], v[10:11]
	v_add_f64 v[10:11], v[32:33], -v[26:27]
	v_add_f64 v[10:11], v[10:11], v[16:17]
	v_add_f64 v[16:17], v[36:37], v[38:39]
	s_delay_alu instid0(VALU_DEP_1) | instskip(SKIP_1) | instid1(VALU_DEP_1)
	v_fma_f64 v[20:21], v[16:17], -0.5, v[0:1]
	v_add_f64 v[16:17], v[26:27], v[24:25]
	v_fma_f64 v[22:23], v[16:17], -0.5, v[2:3]
	s_delay_alu instid0(VALU_DEP_3) | instskip(SKIP_1) | instid1(VALU_DEP_3)
	v_fma_f64 v[16:17], v[48:49], s[12:13], v[20:21]
	v_fma_f64 v[20:21], v[48:49], s[14:15], v[20:21]
	;; [unrolled: 1-line block ×3, first 2 shown]
	s_delay_alu instid0(VALU_DEP_3) | instskip(NEXT) | instid1(VALU_DEP_3)
	v_fma_f64 v[16:17], v[50:51], s[2:3], v[16:17]
	v_fma_f64 v[20:21], v[50:51], s[10:11], v[20:21]
	;; [unrolled: 1-line block ×3, first 2 shown]
	s_delay_alu instid0(VALU_DEP_4) | instskip(NEXT) | instid1(VALU_DEP_4)
	v_fma_f64 v[18:19], v[54:55], s[10:11], v[18:19]
	v_fma_f64 v[16:17], v[8:9], s[16:17], v[16:17]
	s_delay_alu instid0(VALU_DEP_4) | instskip(SKIP_3) | instid1(VALU_DEP_3)
	v_fma_f64 v[20:21], v[8:9], s[16:17], v[20:21]
	v_add_f64 v[8:9], v[34:35], v[28:29]
	v_fma_f64 v[22:23], v[54:55], s[2:3], v[22:23]
	v_fma_f64 v[18:19], v[10:11], s[16:17], v[18:19]
	v_fma_f64 v[56:57], v[8:9], -0.5, v[0:1]
	v_add_f64 v[8:9], v[32:33], v[30:31]
	v_add_f64 v[0:1], v[0:1], v[34:35]
	v_fma_f64 v[22:23], v[10:11], s[16:17], v[22:23]
	v_add_f64 v[34:35], v[36:37], -v[34:35]
	s_delay_alu instid0(VALU_DEP_4) | instskip(SKIP_2) | instid1(VALU_DEP_2)
	v_fma_f64 v[66:67], v[8:9], -0.5, v[2:3]
	v_add_f64 v[2:3], v[2:3], v[32:33]
	v_add_f64 v[0:1], v[0:1], v[36:37]
	;; [unrolled: 1-line block ×3, first 2 shown]
	s_delay_alu instid0(VALU_DEP_2) | instskip(SKIP_2) | instid1(VALU_DEP_4)
	v_add_f64 v[0:1], v[0:1], v[38:39]
	v_add_f64 v[26:27], v[26:27], -v[32:33]
	v_add_f64 v[32:33], v[38:39], -v[28:29]
	v_add_f64 v[2:3], v[2:3], v[24:25]
	s_delay_alu instid0(VALU_DEP_4)
	v_add_f64 v[8:9], v[0:1], v[28:29]
	v_add_f64 v[0:1], v[24:25], -v[30:31]
	v_fma_f64 v[24:25], v[50:51], s[12:13], v[56:57]
	v_fma_f64 v[28:29], v[54:55], s[12:13], v[66:67]
	v_add_f64 v[32:33], v[34:35], v[32:33]
	v_add_f64 v[10:11], v[2:3], v[30:31]
	v_fma_f64 v[2:3], v[50:51], s[14:15], v[56:57]
	v_fma_f64 v[30:31], v[54:55], s[14:15], v[66:67]
	v_add_f64 v[0:1], v[26:27], v[0:1]
	v_fma_f64 v[34:35], v[48:49], s[10:11], v[24:25]
	v_fma_f64 v[26:27], v[52:53], s[10:11], v[28:29]
	;; [unrolled: 1-line block ×4, first 2 shown]
	s_delay_alu instid0(VALU_DEP_4) | instskip(NEXT) | instid1(VALU_DEP_4)
	v_fma_f64 v[28:29], v[32:33], s[16:17], v[34:35]
	v_fma_f64 v[26:27], v[0:1], s[16:17], v[26:27]
	s_delay_alu instid0(VALU_DEP_4) | instskip(NEXT) | instid1(VALU_DEP_4)
	v_fma_f64 v[24:25], v[32:33], s[16:17], v[2:3]
	v_fma_f64 v[30:31], v[0:1], s[16:17], v[30:31]
	v_and_b32_e32 v0, 0xffff, v97
	s_delay_alu instid0(VALU_DEP_1) | instskip(NEXT) | instid1(VALU_DEP_1)
	v_mul_u32_u24_e32 v0, 25, v0
	v_add_lshl_u32 v0, v0, v98, 4
	ds_store_b128 v0, v[58:61]
	ds_store_b128 v0, v[80:83] offset:80
	ds_store_b128 v0, v[62:65] offset:160
	;; [unrolled: 1-line block ×3, first 2 shown]
	scratch_store_b32 off, v0, off offset:396 ; 4-byte Folded Spill
	ds_store_b128 v0, v[118:121] offset:320
	v_mad_u16 v0, v99, 25, v100
	s_delay_alu instid0(VALU_DEP_1) | instskip(NEXT) | instid1(VALU_DEP_1)
	v_and_b32_e32 v0, 0xffff, v0
	v_lshlrev_b32_e32 v0, 4, v0
	ds_store_b128 v0, v[4:7]
	ds_store_b128 v0, v[12:15] offset:80
	ds_store_b128 v0, v[40:43] offset:160
	;; [unrolled: 1-line block ×3, first 2 shown]
	scratch_store_b32 off, v0, off offset:388 ; 4-byte Folded Spill
	ds_store_b128 v0, v[84:87] offset:320
	v_mad_u16 v0, v101, 25, v102
	scratch_store_b32 off, v0, off offset:384 ; 4-byte Folded Spill
	s_and_saveexec_b32 s2, vcc_lo
	s_cbranch_execz .LBB0_11
; %bb.10:
	scratch_load_b32 v0, off, off offset:384 ; 4-byte Folded Reload
	s_waitcnt vmcnt(0)
	v_and_b32_e32 v0, 0xffff, v0
	s_delay_alu instid0(VALU_DEP_1)
	v_lshlrev_b32_e32 v0, 4, v0
	ds_store_b128 v0, v[8:11]
	ds_store_b128 v0, v[16:19] offset:80
	ds_store_b128 v0, v[24:27] offset:160
	;; [unrolled: 1-line block ×4, first 2 shown]
.LBB0_11:
	s_or_b32 exec_lo, exec_lo, s2
	s_waitcnt lgkmcnt(0)
	s_waitcnt_vscnt null, 0x0
	s_barrier
	buffer_gl0_inv
	ds_load_b128 v[12:15], v88
	ds_load_b128 v[4:7], v88 offset:2000
	ds_load_b128 v[68:71], v88 offset:12800
	;; [unrolled: 1-line block ×14, first 2 shown]
	s_and_saveexec_b32 s2, vcc_lo
	s_cbranch_execz .LBB0_13
; %bb.12:
	ds_load_b128 v[8:11], v88 offset:6000
	ds_load_b128 v[16:19], v88 offset:12400
	;; [unrolled: 1-line block ×5, first 2 shown]
.LBB0_13:
	s_or_b32 exec_lo, exec_lo, s2
	v_mul_lo_u16 v80, v93, 41
	s_mov_b32 s14, s12
	s_delay_alu instid0(VALU_DEP_1) | instskip(NEXT) | instid1(VALU_DEP_1)
	v_lshrrev_b16 v217, 10, v80
	v_mul_lo_u16 v80, v217, 25
	s_delay_alu instid0(VALU_DEP_1) | instskip(NEXT) | instid1(VALU_DEP_1)
	v_sub_nc_u16 v80, v221, v80
	v_and_b32_e32 v218, 0xff, v80
	s_delay_alu instid0(VALU_DEP_1) | instskip(SKIP_3) | instid1(VALU_DEP_1)
	v_lshlrev_b32_e32 v82, 6, v218
	global_load_b128 v[83:86], v82, s[0:1] offset:320
	s_waitcnt vmcnt(0) lgkmcnt(8)
	v_mul_f64 v[80:81], v[78:79], v[85:86]
	v_fma_f64 v[206:207], v[76:77], v[83:84], -v[80:81]
	v_mul_f64 v[76:77], v[76:77], v[85:86]
	s_delay_alu instid0(VALU_DEP_1)
	v_fma_f64 v[198:199], v[78:79], v[83:84], v[76:77]
	global_load_b128 v[78:81], v82, s[0:1] offset:336
	s_waitcnt vmcnt(0)
	v_mul_f64 v[76:77], v[70:71], v[80:81]
	scratch_store_b128 off, v[78:81], off offset:312 ; 16-byte Folded Spill
	v_fma_f64 v[212:213], v[68:69], v[78:79], -v[76:77]
	v_mul_f64 v[68:69], v[68:69], v[80:81]
	s_delay_alu instid0(VALU_DEP_1)
	v_fma_f64 v[202:203], v[70:71], v[78:79], v[68:69]
	global_load_b128 v[76:79], v82, s[0:1] offset:352
	scratch_store_b128 off, v[83:86], off offset:328 ; 16-byte Folded Spill
	s_waitcnt vmcnt(0)
	scratch_store_b128 off, v[76:79], off offset:292 ; 16-byte Folded Spill
	s_waitcnt lgkmcnt(4)
	v_mul_f64 v[68:69], v[74:75], v[78:79]
	s_delay_alu instid0(VALU_DEP_1)
	v_fma_f64 v[204:205], v[72:73], v[76:77], -v[68:69]
	v_mul_f64 v[68:69], v[72:73], v[78:79]
	global_load_b128 v[70:73], v82, s[0:1] offset:368
	v_fma_f64 v[200:201], v[74:75], v[76:77], v[68:69]
	s_waitcnt vmcnt(0)
	v_mul_f64 v[68:69], v[66:67], v[72:73]
	s_delay_alu instid0(VALU_DEP_1) | instskip(SKIP_1) | instid1(VALU_DEP_1)
	v_fma_f64 v[208:209], v[64:65], v[70:71], -v[68:69]
	v_mul_f64 v[64:65], v[64:65], v[72:73]
	v_fma_f64 v[210:211], v[66:67], v[70:71], v[64:65]
	v_mul_lo_u16 v64, v94, 41
	s_delay_alu instid0(VALU_DEP_1) | instskip(NEXT) | instid1(VALU_DEP_1)
	v_lshrrev_b16 v214, 10, v64
	v_mul_lo_u16 v64, v214, 25
	s_delay_alu instid0(VALU_DEP_1) | instskip(NEXT) | instid1(VALU_DEP_1)
	v_sub_nc_u16 v64, v92, v64
	v_and_b32_e32 v215, 0xff, v64
	s_delay_alu instid0(VALU_DEP_1)
	v_lshlrev_b32_e32 v66, 6, v215
	s_clause 0x2
	global_load_b128 v[96:99], v66, s[0:1] offset:320
	global_load_b128 v[100:103], v66, s[0:1] offset:352
	;; [unrolled: 1-line block ×3, first 2 shown]
	s_waitcnt vmcnt(2)
	v_mul_f64 v[64:65], v[62:63], v[98:99]
	s_delay_alu instid0(VALU_DEP_1) | instskip(SKIP_1) | instid1(VALU_DEP_1)
	v_fma_f64 v[194:195], v[60:61], v[96:97], -v[64:65]
	v_mul_f64 v[60:61], v[60:61], v[98:99]
	v_fma_f64 v[84:85], v[62:63], v[96:97], v[60:61]
	global_load_b128 v[62:65], v66, s[0:1] offset:336
	scratch_store_b128 off, v[70:73], off offset:344 ; 16-byte Folded Spill
	s_waitcnt vmcnt(0)
	scratch_store_b128 off, v[62:65], off offset:360 ; 16-byte Folded Spill
	v_mul_f64 v[60:61], v[54:55], v[64:65]
	s_delay_alu instid0(VALU_DEP_1) | instskip(SKIP_1) | instid1(VALU_DEP_1)
	v_fma_f64 v[196:197], v[52:53], v[62:63], -v[60:61]
	v_mul_f64 v[52:53], v[52:53], v[64:65]
	v_fma_f64 v[188:189], v[54:55], v[62:63], v[52:53]
	s_waitcnt lgkmcnt(2)
	v_mul_f64 v[52:53], v[58:59], v[102:103]
	s_delay_alu instid0(VALU_DEP_1) | instskip(SKIP_1) | instid1(VALU_DEP_1)
	v_fma_f64 v[190:191], v[56:57], v[100:101], -v[52:53]
	v_mul_f64 v[52:53], v[56:57], v[102:103]
	v_fma_f64 v[86:87], v[58:59], v[100:101], v[52:53]
	v_mul_f64 v[52:53], v[50:51], v[106:107]
	s_delay_alu instid0(VALU_DEP_1) | instskip(SKIP_1) | instid1(VALU_DEP_1)
	v_fma_f64 v[192:193], v[48:49], v[104:105], -v[52:53]
	v_mul_f64 v[48:49], v[48:49], v[106:107]
	v_fma_f64 v[48:49], v[50:51], v[104:105], v[48:49]
	v_mul_u32_u24_e32 v50, 0x47af, v113
	s_delay_alu instid0(VALU_DEP_1) | instskip(NEXT) | instid1(VALU_DEP_1)
	v_lshrrev_b32_e32 v50, 16, v50
	v_sub_nc_u16 v51, v112, v50
	s_delay_alu instid0(VALU_DEP_1) | instskip(NEXT) | instid1(VALU_DEP_1)
	v_lshrrev_b16 v51, 1, v51
	v_add_nc_u16 v50, v51, v50
	s_delay_alu instid0(VALU_DEP_1) | instskip(NEXT) | instid1(VALU_DEP_1)
	v_lshrrev_b16 v219, 4, v50
	v_mul_lo_u16 v50, v219, 25
	s_delay_alu instid0(VALU_DEP_1) | instskip(NEXT) | instid1(VALU_DEP_1)
	v_sub_nc_u16 v220, v112, v50
	v_lshlrev_b16 v50, 6, v220
	s_delay_alu instid0(VALU_DEP_1) | instskip(NEXT) | instid1(VALU_DEP_1)
	v_and_b32_e32 v50, 0xffff, v50
	v_add_co_u32 v50, s2, s0, v50
	s_delay_alu instid0(VALU_DEP_1)
	v_add_co_ci_u32_e64 v51, null, s1, 0, s2
	s_clause 0x3
	global_load_b128 v[116:119], v[50:51], off offset:320
	global_load_b128 v[112:115], v[50:51], off offset:336
	;; [unrolled: 1-line block ×4, first 2 shown]
	v_add_f64 v[50:51], v[194:195], -v[192:193]
	s_waitcnt vmcnt(3)
	v_mul_f64 v[52:53], v[46:47], v[118:119]
	s_delay_alu instid0(VALU_DEP_1) | instskip(SKIP_1) | instid1(VALU_DEP_1)
	v_fma_f64 v[64:65], v[44:45], v[116:117], -v[52:53]
	v_mul_f64 v[44:45], v[44:45], v[118:119]
	v_fma_f64 v[62:63], v[46:47], v[116:117], v[44:45]
	s_waitcnt vmcnt(2)
	v_mul_f64 v[44:45], v[42:43], v[114:115]
	v_add_f64 v[46:47], v[188:189], -v[86:87]
	s_delay_alu instid0(VALU_DEP_2) | instskip(SKIP_2) | instid1(VALU_DEP_2)
	v_fma_f64 v[72:73], v[40:41], v[112:113], -v[44:45]
	v_mul_f64 v[40:41], v[40:41], v[114:115]
	v_add_f64 v[44:45], v[204:205], -v[208:209]
	v_fma_f64 v[74:75], v[42:43], v[112:113], v[40:41]
	s_waitcnt vmcnt(1) lgkmcnt(1)
	v_mul_f64 v[40:41], v[38:39], v[122:123]
	v_add_f64 v[42:43], v[202:203], -v[198:199]
	s_delay_alu instid0(VALU_DEP_2) | instskip(SKIP_2) | instid1(VALU_DEP_2)
	v_fma_f64 v[76:77], v[36:37], v[120:121], -v[40:41]
	v_mul_f64 v[36:37], v[36:37], v[122:123]
	v_add_f64 v[40:41], v[212:213], -v[206:207]
	v_fma_f64 v[68:69], v[38:39], v[120:121], v[36:37]
	s_waitcnt vmcnt(0) lgkmcnt(0)
	v_mul_f64 v[36:37], v[34:35], v[126:127]
	s_delay_alu instid0(VALU_DEP_1) | instskip(SKIP_1) | instid1(VALU_DEP_1)
	v_fma_f64 v[80:81], v[32:33], v[124:125], -v[36:37]
	v_mul_f64 v[32:33], v[32:33], v[126:127]
	v_fma_f64 v[82:83], v[34:35], v[124:125], v[32:33]
	v_mul_u32_u24_e32 v32, 0x47af, v216
	s_delay_alu instid0(VALU_DEP_1) | instskip(NEXT) | instid1(VALU_DEP_1)
	v_lshrrev_b32_e32 v32, 16, v32
	v_sub_nc_u16 v33, v89, v32
	s_delay_alu instid0(VALU_DEP_1) | instskip(NEXT) | instid1(VALU_DEP_1)
	v_lshrrev_b16 v33, 1, v33
	v_add_nc_u16 v32, v33, v32
	s_delay_alu instid0(VALU_DEP_1) | instskip(NEXT) | instid1(VALU_DEP_1)
	v_lshrrev_b16 v32, 4, v32
	v_mul_lo_u16 v32, v32, 25
	s_delay_alu instid0(VALU_DEP_1) | instskip(NEXT) | instid1(VALU_DEP_1)
	v_sub_nc_u16 v216, v89, v32
	v_lshlrev_b16 v32, 6, v216
	s_delay_alu instid0(VALU_DEP_1) | instskip(NEXT) | instid1(VALU_DEP_1)
	v_and_b32_e32 v32, 0xffff, v32
	v_add_co_u32 v32, s2, s0, v32
	s_delay_alu instid0(VALU_DEP_1)
	v_add_co_ci_u32_e64 v33, null, s1, 0, s2
	s_mov_b32 s2, 0x4755a5e
	s_mov_b32 s3, 0x3fe2cf23
	;; [unrolled: 1-line block ×3, first 2 shown]
	global_load_b128 v[36:39], v[32:33], off offset:320
	s_waitcnt vmcnt(0)
	v_mul_f64 v[34:35], v[18:19], v[38:39]
	scratch_store_b128 off, v[36:39], off offset:412 ; 16-byte Folded Spill
	v_fma_f64 v[52:53], v[16:17], v[36:37], -v[34:35]
	v_mul_f64 v[16:17], v[16:17], v[38:39]
	s_delay_alu instid0(VALU_DEP_1) | instskip(SKIP_4) | instid1(VALU_DEP_1)
	v_fma_f64 v[56:57], v[18:19], v[36:37], v[16:17]
	global_load_b128 v[34:37], v[32:33], off offset:336
	v_add_f64 v[18:19], v[208:209], -v[204:205]
	s_waitcnt vmcnt(0)
	v_mul_f64 v[16:17], v[26:27], v[36:37]
	v_fma_f64 v[54:55], v[24:25], v[34:35], -v[16:17]
	v_mul_f64 v[16:17], v[24:25], v[36:37]
	s_delay_alu instid0(VALU_DEP_1)
	v_fma_f64 v[58:59], v[26:27], v[34:35], v[16:17]
	global_load_b128 v[24:27], v[32:33], off offset:352
	scratch_store_b128 off, v[34:37], off offset:428 ; 16-byte Folded Spill
	v_add_f64 v[34:35], v[212:213], -v[204:205]
	s_waitcnt vmcnt(0)
	scratch_store_b128 off, v[24:27], off offset:444 ; 16-byte Folded Spill
	v_mul_f64 v[16:17], v[30:31], v[26:27]
	s_delay_alu instid0(VALU_DEP_1) | instskip(SKIP_2) | instid1(VALU_DEP_2)
	v_fma_f64 v[60:61], v[28:29], v[24:25], -v[16:17]
	v_mul_f64 v[16:17], v[28:29], v[26:27]
	v_add_f64 v[28:29], v[198:199], -v[210:211]
	v_fma_f64 v[66:67], v[30:31], v[24:25], v[16:17]
	global_load_b128 v[24:27], v[32:33], off offset:368
	v_add_f64 v[32:33], v[206:207], -v[208:209]
	v_add_f64 v[30:31], v[202:203], -v[200:201]
	s_waitcnt vmcnt(0)
	v_mul_f64 v[16:17], v[22:23], v[26:27]
	scratch_store_b128 off, v[24:27], off offset:460 ; 16-byte Folded Spill
	s_waitcnt_vscnt null, 0x0
	s_barrier
	buffer_gl0_inv
	v_fma_f64 v[70:71], v[20:21], v[24:25], -v[16:17]
	v_mul_f64 v[16:17], v[20:21], v[26:27]
	s_delay_alu instid0(VALU_DEP_1) | instskip(SKIP_1) | instid1(VALU_DEP_1)
	v_fma_f64 v[78:79], v[22:23], v[24:25], v[16:17]
	v_add_f64 v[16:17], v[206:207], -v[212:213]
	v_add_f64 v[20:21], v[16:17], v[18:19]
	v_add_f64 v[16:17], v[198:199], -v[202:203]
	v_add_f64 v[18:19], v[210:211], -v[200:201]
	s_delay_alu instid0(VALU_DEP_1) | instskip(SKIP_1) | instid1(VALU_DEP_1)
	v_add_f64 v[22:23], v[16:17], v[18:19]
	v_add_f64 v[16:17], v[212:213], v[204:205]
	v_fma_f64 v[24:25], v[16:17], -0.5, v[12:13]
	v_add_f64 v[16:17], v[202:203], v[200:201]
	s_delay_alu instid0(VALU_DEP_1) | instskip(NEXT) | instid1(VALU_DEP_3)
	v_fma_f64 v[26:27], v[16:17], -0.5, v[14:15]
	v_fma_f64 v[16:17], v[28:29], s[12:13], v[24:25]
	v_fma_f64 v[24:25], v[28:29], s[14:15], v[24:25]
	s_delay_alu instid0(VALU_DEP_3) | instskip(SKIP_1) | instid1(VALU_DEP_4)
	v_fma_f64 v[18:19], v[32:33], s[14:15], v[26:27]
	v_fma_f64 v[26:27], v[32:33], s[12:13], v[26:27]
	v_fma_f64 v[16:17], v[30:31], s[2:3], v[16:17]
	s_delay_alu instid0(VALU_DEP_4) | instskip(NEXT) | instid1(VALU_DEP_4)
	v_fma_f64 v[24:25], v[30:31], s[10:11], v[24:25]
	v_fma_f64 v[18:19], v[34:35], s[10:11], v[18:19]
	s_delay_alu instid0(VALU_DEP_4) | instskip(NEXT) | instid1(VALU_DEP_4)
	v_fma_f64 v[26:27], v[34:35], s[2:3], v[26:27]
	v_fma_f64 v[16:17], v[20:21], s[16:17], v[16:17]
	s_delay_alu instid0(VALU_DEP_4) | instskip(SKIP_4) | instid1(VALU_DEP_4)
	v_fma_f64 v[20:21], v[20:21], s[16:17], v[24:25]
	v_add_f64 v[24:25], v[206:207], v[208:209]
	v_fma_f64 v[18:19], v[22:23], s[16:17], v[18:19]
	v_fma_f64 v[22:23], v[22:23], s[16:17], v[26:27]
	v_add_f64 v[26:27], v[198:199], v[210:211]
	v_fma_f64 v[24:25], v[24:25], -0.5, v[12:13]
	v_add_f64 v[12:13], v[12:13], v[206:207]
	s_delay_alu instid0(VALU_DEP_3) | instskip(SKIP_2) | instid1(VALU_DEP_4)
	v_fma_f64 v[26:27], v[26:27], -0.5, v[14:15]
	v_add_f64 v[14:15], v[14:15], v[198:199]
	v_add_f64 v[198:199], v[196:197], -v[190:191]
	v_add_f64 v[12:13], v[12:13], v[212:213]
	s_delay_alu instid0(VALU_DEP_3) | instskip(NEXT) | instid1(VALU_DEP_2)
	v_add_f64 v[14:15], v[14:15], v[202:203]
	v_add_f64 v[12:13], v[12:13], v[204:205]
	s_delay_alu instid0(VALU_DEP_2) | instskip(NEXT) | instid1(VALU_DEP_2)
	v_add_f64 v[14:15], v[14:15], v[200:201]
	v_add_f64 v[36:37], v[12:13], v[208:209]
	v_add_f64 v[12:13], v[200:201], -v[210:211]
	s_delay_alu instid0(VALU_DEP_3)
	v_add_f64 v[38:39], v[14:15], v[210:211]
	v_fma_f64 v[14:15], v[30:31], s[14:15], v[24:25]
	v_fma_f64 v[24:25], v[30:31], s[12:13], v[24:25]
	;; [unrolled: 1-line block ×4, first 2 shown]
	v_add_f64 v[34:35], v[40:41], v[44:45]
	v_add_f64 v[40:41], v[42:43], v[12:13]
	v_add_f64 v[44:45], v[84:85], -v[48:49]
	v_fma_f64 v[12:13], v[28:29], s[2:3], v[14:15]
	v_fma_f64 v[24:25], v[28:29], s[10:11], v[24:25]
	;; [unrolled: 1-line block ×3, first 2 shown]
	v_add_f64 v[28:29], v[194:195], -v[196:197]
	v_add_f64 v[30:31], v[192:193], -v[190:191]
	v_fma_f64 v[26:27], v[32:33], s[2:3], v[26:27]
	v_fma_f64 v[12:13], v[34:35], s[16:17], v[12:13]
	v_fma_f64 v[24:25], v[34:35], s[16:17], v[24:25]
	v_fma_f64 v[14:15], v[40:41], s[16:17], v[14:15]
	v_add_f64 v[32:33], v[28:29], v[30:31]
	v_add_f64 v[28:29], v[84:85], -v[188:189]
	v_add_f64 v[30:31], v[48:49], -v[86:87]
	v_fma_f64 v[26:27], v[40:41], s[16:17], v[26:27]
	s_delay_alu instid0(VALU_DEP_2) | instskip(SKIP_1) | instid1(VALU_DEP_1)
	v_add_f64 v[34:35], v[28:29], v[30:31]
	v_add_f64 v[28:29], v[196:197], v[190:191]
	v_fma_f64 v[40:41], v[28:29], -0.5, v[4:5]
	v_add_f64 v[28:29], v[188:189], v[86:87]
	s_delay_alu instid0(VALU_DEP_1) | instskip(NEXT) | instid1(VALU_DEP_3)
	v_fma_f64 v[42:43], v[28:29], -0.5, v[6:7]
	v_fma_f64 v[28:29], v[44:45], s[12:13], v[40:41]
	v_fma_f64 v[40:41], v[44:45], s[14:15], v[40:41]
	s_delay_alu instid0(VALU_DEP_3) | instskip(NEXT) | instid1(VALU_DEP_3)
	v_fma_f64 v[30:31], v[50:51], s[14:15], v[42:43]
	v_fma_f64 v[28:29], v[46:47], s[2:3], v[28:29]
	s_delay_alu instid0(VALU_DEP_3) | instskip(SKIP_1) | instid1(VALU_DEP_4)
	v_fma_f64 v[40:41], v[46:47], s[10:11], v[40:41]
	v_fma_f64 v[42:43], v[50:51], s[12:13], v[42:43]
	;; [unrolled: 1-line block ×3, first 2 shown]
	s_delay_alu instid0(VALU_DEP_4) | instskip(NEXT) | instid1(VALU_DEP_4)
	v_fma_f64 v[28:29], v[32:33], s[16:17], v[28:29]
	v_fma_f64 v[32:33], v[32:33], s[16:17], v[40:41]
	v_add_f64 v[40:41], v[194:195], v[192:193]
	v_fma_f64 v[42:43], v[198:199], s[2:3], v[42:43]
	v_fma_f64 v[30:31], v[34:35], s[16:17], v[30:31]
	s_delay_alu instid0(VALU_DEP_3) | instskip(SKIP_4) | instid1(VALU_DEP_4)
	v_fma_f64 v[200:201], v[40:41], -0.5, v[4:5]
	v_add_f64 v[40:41], v[84:85], v[48:49]
	v_add_f64 v[4:5], v[4:5], v[194:195]
	v_fma_f64 v[34:35], v[34:35], s[16:17], v[42:43]
	v_add_f64 v[194:195], v[196:197], -v[194:195]
	v_fma_f64 v[202:203], v[40:41], -0.5, v[6:7]
	v_add_f64 v[6:7], v[6:7], v[84:85]
	v_add_f64 v[4:5], v[4:5], v[196:197]
	v_add_f64 v[84:85], v[188:189], -v[84:85]
	v_add_f64 v[196:197], v[72:73], -v[64:65]
	s_delay_alu instid0(VALU_DEP_4) | instskip(NEXT) | instid1(VALU_DEP_4)
	v_add_f64 v[6:7], v[6:7], v[188:189]
	v_add_f64 v[4:5], v[4:5], v[190:191]
	v_add_f64 v[188:189], v[190:191], -v[192:193]
	v_add_f64 v[190:191], v[74:75], -v[68:69]
	s_delay_alu instid0(VALU_DEP_4) | instskip(NEXT) | instid1(VALU_DEP_4)
	v_add_f64 v[6:7], v[6:7], v[86:87]
	v_add_f64 v[40:41], v[4:5], v[192:193]
	v_add_f64 v[4:5], v[86:87], -v[48:49]
	v_fma_f64 v[86:87], v[198:199], s[14:15], v[202:203]
	v_add_f64 v[188:189], v[194:195], v[188:189]
	v_add_f64 v[192:193], v[64:65], -v[80:81]
	v_add_f64 v[194:195], v[72:73], -v[76:77]
	v_add_f64 v[42:43], v[6:7], v[48:49]
	v_fma_f64 v[6:7], v[46:47], s[14:15], v[200:201]
	v_fma_f64 v[46:47], v[46:47], s[12:13], v[200:201]
	;; [unrolled: 1-line block ×3, first 2 shown]
	v_add_f64 v[4:5], v[84:85], v[4:5]
	s_delay_alu instid0(VALU_DEP_4) | instskip(NEXT) | instid1(VALU_DEP_4)
	v_fma_f64 v[6:7], v[44:45], s[2:3], v[6:7]
	v_fma_f64 v[84:85], v[44:45], s[10:11], v[46:47]
	s_delay_alu instid0(VALU_DEP_4) | instskip(SKIP_1) | instid1(VALU_DEP_4)
	v_fma_f64 v[46:47], v[50:51], s[10:11], v[48:49]
	v_fma_f64 v[50:51], v[50:51], s[2:3], v[86:87]
	;; [unrolled: 1-line block ×3, first 2 shown]
	v_add_f64 v[6:7], v[80:81], -v[76:77]
	s_delay_alu instid0(VALU_DEP_4) | instskip(NEXT) | instid1(VALU_DEP_4)
	v_fma_f64 v[46:47], v[4:5], s[16:17], v[46:47]
	v_fma_f64 v[50:51], v[4:5], s[16:17], v[50:51]
	v_and_b32_e32 v4, 0xffff, v217
	v_fma_f64 v[48:49], v[188:189], s[16:17], v[84:85]
	v_add_f64 v[188:189], v[62:63], -v[82:83]
	s_delay_alu instid0(VALU_DEP_3) | instskip(NEXT) | instid1(VALU_DEP_1)
	v_mul_u32_u24_e32 v4, 0x7d, v4
	v_add_lshl_u32 v89, v4, v218, 4
	v_add_f64 v[4:5], v[64:65], -v[72:73]
	ds_store_b128 v89, v[36:39]
	v_add_f64 v[36:37], v[82:83], -v[68:69]
	ds_store_b128 v89, v[16:19] offset:400
	ds_store_b128 v89, v[12:15] offset:800
	;; [unrolled: 1-line block ×3, first 2 shown]
	v_and_b32_e32 v12, 0xffff, v214
	scratch_store_b32 off, v89, off offset:404 ; 4-byte Folded Spill
	ds_store_b128 v89, v[20:23] offset:1600
	v_mul_u32_u24_e32 v12, 0x7d, v12
	s_delay_alu instid0(VALU_DEP_1)
	v_add_lshl_u32 v12, v12, v215, 4
	ds_store_b128 v12, v[40:43]
	ds_store_b128 v12, v[28:31] offset:400
	ds_store_b128 v12, v[44:47] offset:800
	;; [unrolled: 1-line block ×3, first 2 shown]
	scratch_store_b32 off, v12, off offset:408 ; 4-byte Folded Spill
	ds_store_b128 v12, v[32:35] offset:1600
	v_mad_u16 v12, 0x7d, v219, v220
	s_delay_alu instid0(VALU_DEP_1) | instskip(SKIP_2) | instid1(VALU_DEP_3)
	v_and_b32_e32 v12, 0xffff, v12
	v_add_f64 v[4:5], v[4:5], v[6:7]
	v_add_f64 v[6:7], v[62:63], -v[74:75]
	v_lshlrev_b32_e32 v89, 4, v12
	v_and_b32_e32 v12, 0xffff, v216
	s_delay_alu instid0(VALU_DEP_3) | instskip(SKIP_1) | instid1(VALU_DEP_1)
	v_add_f64 v[6:7], v[6:7], v[36:37]
	v_add_f64 v[36:37], v[72:73], v[76:77]
	v_fma_f64 v[84:85], v[36:37], -0.5, v[0:1]
	v_add_f64 v[36:37], v[74:75], v[68:69]
	s_delay_alu instid0(VALU_DEP_1) | instskip(NEXT) | instid1(VALU_DEP_3)
	v_fma_f64 v[86:87], v[36:37], -0.5, v[2:3]
	v_fma_f64 v[36:37], v[188:189], s[12:13], v[84:85]
	v_fma_f64 v[84:85], v[188:189], s[14:15], v[84:85]
	s_delay_alu instid0(VALU_DEP_3) | instskip(SKIP_1) | instid1(VALU_DEP_4)
	v_fma_f64 v[38:39], v[192:193], s[14:15], v[86:87]
	v_fma_f64 v[86:87], v[192:193], s[12:13], v[86:87]
	;; [unrolled: 1-line block ×3, first 2 shown]
	s_delay_alu instid0(VALU_DEP_4) | instskip(NEXT) | instid1(VALU_DEP_4)
	v_fma_f64 v[84:85], v[190:191], s[10:11], v[84:85]
	v_fma_f64 v[38:39], v[194:195], s[10:11], v[38:39]
	s_delay_alu instid0(VALU_DEP_4) | instskip(NEXT) | instid1(VALU_DEP_4)
	v_fma_f64 v[86:87], v[194:195], s[2:3], v[86:87]
	v_fma_f64 v[36:37], v[4:5], s[16:17], v[36:37]
	s_delay_alu instid0(VALU_DEP_4) | instskip(SKIP_4) | instid1(VALU_DEP_4)
	v_fma_f64 v[84:85], v[4:5], s[16:17], v[84:85]
	v_add_f64 v[4:5], v[64:65], v[80:81]
	v_fma_f64 v[38:39], v[6:7], s[16:17], v[38:39]
	v_fma_f64 v[86:87], v[6:7], s[16:17], v[86:87]
	v_add_f64 v[6:7], v[62:63], v[82:83]
	v_fma_f64 v[4:5], v[4:5], -0.5, v[0:1]
	v_add_f64 v[0:1], v[0:1], v[64:65]
	s_delay_alu instid0(VALU_DEP_3) | instskip(SKIP_1) | instid1(VALU_DEP_3)
	v_fma_f64 v[6:7], v[6:7], -0.5, v[2:3]
	v_add_f64 v[2:3], v[2:3], v[62:63]
	v_add_f64 v[0:1], v[0:1], v[72:73]
	v_add_f64 v[72:73], v[74:75], -v[62:63]
	s_delay_alu instid0(VALU_DEP_3) | instskip(SKIP_1) | instid1(VALU_DEP_4)
	v_add_f64 v[2:3], v[2:3], v[74:75]
	v_add_f64 v[74:75], v[76:77], -v[80:81]
	v_add_f64 v[0:1], v[0:1], v[76:77]
	s_delay_alu instid0(VALU_DEP_3) | instskip(NEXT) | instid1(VALU_DEP_3)
	v_add_f64 v[2:3], v[2:3], v[68:69]
	v_add_f64 v[76:77], v[196:197], v[74:75]
	s_delay_alu instid0(VALU_DEP_3)
	v_add_f64 v[62:63], v[0:1], v[80:81]
	v_add_f64 v[0:1], v[68:69], -v[82:83]
	v_fma_f64 v[68:69], v[194:195], s[12:13], v[6:7]
	v_fma_f64 v[6:7], v[194:195], s[14:15], v[6:7]
	v_add_f64 v[64:65], v[2:3], v[82:83]
	v_fma_f64 v[2:3], v[190:191], s[14:15], v[4:5]
	v_fma_f64 v[4:5], v[190:191], s[12:13], v[4:5]
	v_add_f64 v[0:1], v[72:73], v[0:1]
	v_fma_f64 v[68:69], v[192:193], s[10:11], v[68:69]
	v_fma_f64 v[6:7], v[192:193], s[2:3], v[6:7]
	v_add_f64 v[190:191], v[52:53], -v[70:71]
	v_add_f64 v[192:193], v[54:55], -v[60:61]
	v_fma_f64 v[2:3], v[188:189], s[2:3], v[2:3]
	v_fma_f64 v[4:5], v[188:189], s[10:11], v[4:5]
	;; [unrolled: 1-line block ×4, first 2 shown]
	v_add_f64 v[0:1], v[52:53], -v[54:55]
	v_add_f64 v[6:7], v[58:59], v[66:67]
	v_add_f64 v[68:69], v[56:57], -v[78:79]
	v_fma_f64 v[72:73], v[76:77], s[16:17], v[2:3]
	v_add_f64 v[2:3], v[70:71], -v[60:61]
	v_fma_f64 v[80:81], v[76:77], s[16:17], v[4:5]
	v_add_f64 v[4:5], v[78:79], -v[66:67]
	v_add_f64 v[76:77], v[58:59], -v[66:67]
	ds_store_b128 v89, v[62:65]
	ds_store_b128 v89, v[36:39] offset:400
	ds_store_b128 v89, v[72:75] offset:800
	;; [unrolled: 1-line block ×4, first 2 shown]
	v_fma_f64 v[6:7], v[6:7], -0.5, v[10:11]
	v_add_f64 v[0:1], v[0:1], v[2:3]
	v_add_f64 v[2:3], v[56:57], -v[58:59]
	scratch_store_b32 off, v12, off offset:400 ; 4-byte Folded Spill
	v_fma_f64 v[194:195], v[190:191], s[14:15], v[6:7]
	v_fma_f64 v[6:7], v[190:191], s[12:13], v[6:7]
	v_add_f64 v[2:3], v[2:3], v[4:5]
	v_add_f64 v[4:5], v[54:55], v[60:61]
	s_delay_alu instid0(VALU_DEP_4) | instskip(NEXT) | instid1(VALU_DEP_4)
	v_fma_f64 v[194:195], v[192:193], s[10:11], v[194:195]
	v_fma_f64 v[6:7], v[192:193], s[2:3], v[6:7]
	s_delay_alu instid0(VALU_DEP_3) | instskip(NEXT) | instid1(VALU_DEP_3)
	v_fma_f64 v[4:5], v[4:5], -0.5, v[8:9]
	v_fma_f64 v[250:251], v[2:3], s[16:17], v[194:195]
	s_delay_alu instid0(VALU_DEP_3) | instskip(SKIP_1) | instid1(VALU_DEP_4)
	v_fma_f64 v[254:255], v[2:3], s[16:17], v[6:7]
	v_add_f64 v[2:3], v[60:61], -v[70:71]
	v_fma_f64 v[188:189], v[68:69], s[12:13], v[4:5]
	v_fma_f64 v[4:5], v[68:69], s[14:15], v[4:5]
	v_add_f64 v[6:7], v[56:57], v[78:79]
	s_delay_alu instid0(VALU_DEP_3) | instskip(NEXT) | instid1(VALU_DEP_3)
	v_fma_f64 v[188:189], v[76:77], s[2:3], v[188:189]
	v_fma_f64 v[4:5], v[76:77], s[10:11], v[4:5]
	s_delay_alu instid0(VALU_DEP_3) | instskip(NEXT) | instid1(VALU_DEP_3)
	v_fma_f64 v[6:7], v[6:7], -0.5, v[10:11]
	v_fma_f64 v[248:249], v[0:1], s[16:17], v[188:189]
	s_delay_alu instid0(VALU_DEP_3) | instskip(SKIP_2) | instid1(VALU_DEP_2)
	v_fma_f64 v[252:253], v[0:1], s[16:17], v[4:5]
	v_add_f64 v[0:1], v[54:55], -v[52:53]
	v_add_f64 v[188:189], v[58:59], -v[56:57]
	v_add_f64 v[4:5], v[0:1], v[2:3]
	v_add_f64 v[0:1], v[52:53], v[70:71]
	s_delay_alu instid0(VALU_DEP_1) | instskip(NEXT) | instid1(VALU_DEP_1)
	v_fma_f64 v[0:1], v[0:1], -0.5, v[8:9]
	v_fma_f64 v[2:3], v[76:77], s[14:15], v[0:1]
	v_fma_f64 v[0:1], v[76:77], s[12:13], v[0:1]
	;; [unrolled: 1-line block ×4, first 2 shown]
	v_add_f64 v[192:193], v[66:67], -v[78:79]
	v_fma_f64 v[2:3], v[68:69], s[2:3], v[2:3]
	v_fma_f64 v[68:69], v[68:69], s[10:11], v[0:1]
	;; [unrolled: 1-line block ×4, first 2 shown]
	v_add_f64 v[188:189], v[188:189], v[192:193]
	v_fma_f64 v[0:1], v[4:5], s[16:17], v[2:3]
	v_fma_f64 v[4:5], v[4:5], s[16:17], v[68:69]
	s_delay_alu instid0(VALU_DEP_3)
	v_fma_f64 v[2:3], v[188:189], s[16:17], v[76:77]
	v_fma_f64 v[6:7], v[188:189], s[16:17], v[6:7]
	s_and_saveexec_b32 s2, vcc_lo
	s_cbranch_execz .LBB0_15
; %bb.14:
	scratch_load_b32 v12, off, off offset:400 ; 4-byte Folded Reload
	v_add_f64 v[10:11], v[10:11], v[56:57]
	v_add_f64 v[8:9], v[8:9], v[52:53]
	s_delay_alu instid0(VALU_DEP_2) | instskip(NEXT) | instid1(VALU_DEP_2)
	v_add_f64 v[10:11], v[10:11], v[58:59]
	v_add_f64 v[8:9], v[8:9], v[54:55]
	s_delay_alu instid0(VALU_DEP_2) | instskip(NEXT) | instid1(VALU_DEP_2)
	;; [unrolled: 3-line block ×3, first 2 shown]
	v_add_f64 v[10:11], v[10:11], v[78:79]
	v_add_f64 v[8:9], v[8:9], v[70:71]
	s_waitcnt vmcnt(0)
	v_lshlrev_b32_e32 v12, 4, v12
	ds_store_b128 v12, v[0:3] offset:30800
	ds_store_b128 v12, v[4:7] offset:31200
	;; [unrolled: 1-line block ×5, first 2 shown]
.LBB0_15:
	s_or_b32 exec_lo, exec_lo, s2
	v_mad_u64_u32 v[72:73], null, 0xf0, v221, s[0:1]
	s_waitcnt lgkmcnt(0)
	s_waitcnt_vscnt null, 0x0
	s_barrier
	buffer_gl0_inv
	ds_load_b128 v[8:11], v88
	ds_load_b128 v[20:23], v88 offset:2000
	ds_load_b128 v[24:27], v88 offset:4000
	;; [unrolled: 1-line block ×15, first 2 shown]
	scratch_store_b32 off, v221, off offset:240 ; 4-byte Folded Spill
	s_mov_b32 s0, 0x667f3bcd
	s_clause 0xe
	global_load_b128 v[188:191], v[72:73], off offset:1968
	global_load_b128 v[192:195], v[72:73], off offset:1952
	;; [unrolled: 1-line block ×15, first 2 shown]
	s_mov_b32 s1, 0xbfe6a09e
	s_mov_b32 s3, 0x3fe6a09e
	;; [unrolled: 1-line block ×11, first 2 shown]
	s_waitcnt vmcnt(11) lgkmcnt(14)
	v_mul_f64 v[74:75], v[22:23], v[202:203]
	s_delay_alu instid0(VALU_DEP_1) | instskip(SKIP_1) | instid1(VALU_DEP_1)
	v_fma_f64 v[74:75], v[20:21], v[200:201], -v[74:75]
	v_mul_f64 v[20:21], v[20:21], v[202:203]
	v_fma_f64 v[20:21], v[22:23], v[200:201], v[20:21]
	s_waitcnt lgkmcnt(13)
	v_mul_f64 v[22:23], v[26:27], v[198:199]
	s_delay_alu instid0(VALU_DEP_1) | instskip(SKIP_1) | instid1(VALU_DEP_1)
	v_fma_f64 v[22:23], v[24:25], v[196:197], -v[22:23]
	v_mul_f64 v[24:25], v[24:25], v[198:199]
	v_fma_f64 v[24:25], v[26:27], v[196:197], v[24:25]
	s_waitcnt lgkmcnt(12)
	;; [unrolled: 6-line block ×3, first 2 shown]
	v_mul_f64 v[30:31], v[34:35], v[190:191]
	s_delay_alu instid0(VALU_DEP_1) | instskip(SKIP_1) | instid1(VALU_DEP_1)
	v_fma_f64 v[30:31], v[32:33], v[188:189], -v[30:31]
	v_mul_f64 v[32:33], v[32:33], v[190:191]
	v_fma_f64 v[32:33], v[34:35], v[188:189], v[32:33]
	s_waitcnt vmcnt(7) lgkmcnt(10)
	v_mul_f64 v[34:35], v[38:39], v[218:219]
	s_delay_alu instid0(VALU_DEP_1) | instskip(SKIP_1) | instid1(VALU_DEP_1)
	v_fma_f64 v[34:35], v[36:37], v[216:217], -v[34:35]
	v_mul_f64 v[36:37], v[36:37], v[218:219]
	v_fma_f64 v[36:37], v[38:39], v[216:217], v[36:37]
	s_waitcnt lgkmcnt(9)
	v_mul_f64 v[38:39], v[42:43], v[214:215]
	s_delay_alu instid0(VALU_DEP_1) | instskip(SKIP_1) | instid1(VALU_DEP_1)
	v_fma_f64 v[38:39], v[40:41], v[212:213], -v[38:39]
	v_mul_f64 v[40:41], v[40:41], v[214:215]
	v_fma_f64 v[40:41], v[42:43], v[212:213], v[40:41]
	s_waitcnt lgkmcnt(8)
	;; [unrolled: 6-line block ×3, first 2 shown]
	v_mul_f64 v[46:47], v[50:51], v[206:207]
	s_delay_alu instid0(VALU_DEP_1) | instskip(SKIP_1) | instid1(VALU_DEP_1)
	v_fma_f64 v[46:47], v[48:49], v[204:205], -v[46:47]
	v_mul_f64 v[48:49], v[48:49], v[206:207]
	v_fma_f64 v[48:49], v[50:51], v[204:205], v[48:49]
	s_waitcnt vmcnt(3) lgkmcnt(6)
	v_mul_f64 v[50:51], v[54:55], v[234:235]
	s_delay_alu instid0(VALU_DEP_1) | instskip(SKIP_1) | instid1(VALU_DEP_2)
	v_fma_f64 v[50:51], v[52:53], v[232:233], -v[50:51]
	v_mul_f64 v[52:53], v[52:53], v[234:235]
	v_add_f64 v[50:51], v[74:75], -v[50:51]
	s_delay_alu instid0(VALU_DEP_2) | instskip(SKIP_2) | instid1(VALU_DEP_2)
	v_fma_f64 v[52:53], v[54:55], v[232:233], v[52:53]
	s_waitcnt lgkmcnt(5)
	v_mul_f64 v[54:55], v[58:59], v[230:231]
	v_add_f64 v[52:53], v[20:21], -v[52:53]
	s_delay_alu instid0(VALU_DEP_2) | instskip(SKIP_1) | instid1(VALU_DEP_3)
	v_fma_f64 v[54:55], v[56:57], v[228:229], -v[54:55]
	v_mul_f64 v[56:57], v[56:57], v[230:231]
	v_fma_f64 v[20:21], v[20:21], 2.0, -v[52:53]
	s_delay_alu instid0(VALU_DEP_3) | instskip(NEXT) | instid1(VALU_DEP_3)
	v_add_f64 v[54:55], v[22:23], -v[54:55]
	v_fma_f64 v[56:57], v[58:59], v[228:229], v[56:57]
	s_waitcnt lgkmcnt(4)
	v_mul_f64 v[58:59], v[62:63], v[222:223]
	s_delay_alu instid0(VALU_DEP_3) | instskip(NEXT) | instid1(VALU_DEP_3)
	v_fma_f64 v[22:23], v[22:23], 2.0, -v[54:55]
	v_add_f64 v[56:57], v[24:25], -v[56:57]
	s_delay_alu instid0(VALU_DEP_3) | instskip(SKIP_1) | instid1(VALU_DEP_3)
	v_fma_f64 v[58:59], v[60:61], v[220:221], -v[58:59]
	v_mul_f64 v[60:61], v[60:61], v[222:223]
	v_fma_f64 v[24:25], v[24:25], 2.0, -v[56:57]
	s_delay_alu instid0(VALU_DEP_3) | instskip(NEXT) | instid1(VALU_DEP_3)
	v_add_f64 v[58:59], v[26:27], -v[58:59]
	v_fma_f64 v[60:61], v[62:63], v[220:221], v[60:61]
	s_waitcnt lgkmcnt(3)
	v_mul_f64 v[62:63], v[66:67], v[226:227]
	s_delay_alu instid0(VALU_DEP_3) | instskip(NEXT) | instid1(VALU_DEP_3)
	v_fma_f64 v[26:27], v[26:27], 2.0, -v[58:59]
	v_add_f64 v[60:61], v[28:29], -v[60:61]
	s_delay_alu instid0(VALU_DEP_3) | instskip(SKIP_1) | instid1(VALU_DEP_3)
	v_fma_f64 v[62:63], v[64:65], v[224:225], -v[62:63]
	v_mul_f64 v[64:65], v[64:65], v[226:227]
	v_fma_f64 v[28:29], v[28:29], 2.0, -v[60:61]
	s_delay_alu instid0(VALU_DEP_2) | instskip(SKIP_2) | instid1(VALU_DEP_1)
	v_fma_f64 v[64:65], v[66:67], v[224:225], v[64:65]
	s_waitcnt vmcnt(0) lgkmcnt(2)
	v_mul_f64 v[66:67], v[70:71], v[246:247]
	v_fma_f64 v[66:67], v[68:69], v[244:245], -v[66:67]
	v_mul_f64 v[68:69], v[68:69], v[246:247]
	s_delay_alu instid0(VALU_DEP_2) | instskip(NEXT) | instid1(VALU_DEP_2)
	v_add_f64 v[66:67], v[34:35], -v[66:67]
	v_fma_f64 v[68:69], v[70:71], v[244:245], v[68:69]
	s_waitcnt lgkmcnt(1)
	v_mul_f64 v[70:71], v[18:19], v[242:243]
	s_delay_alu instid0(VALU_DEP_3) | instskip(NEXT) | instid1(VALU_DEP_3)
	v_fma_f64 v[34:35], v[34:35], 2.0, -v[66:67]
	v_add_f64 v[68:69], v[36:37], -v[68:69]
	s_delay_alu instid0(VALU_DEP_3) | instskip(SKIP_2) | instid1(VALU_DEP_4)
	v_fma_f64 v[70:71], v[16:17], v[240:241], -v[70:71]
	v_mul_f64 v[16:17], v[16:17], v[242:243]
	v_add_f64 v[66:67], v[52:53], v[66:67]
	v_fma_f64 v[36:37], v[36:37], 2.0, -v[68:69]
	v_add_f64 v[68:69], v[50:51], -v[68:69]
	s_delay_alu instid0(VALU_DEP_4) | instskip(SKIP_4) | instid1(VALU_DEP_4)
	v_fma_f64 v[16:17], v[18:19], v[240:241], v[16:17]
	s_waitcnt lgkmcnt(0)
	v_mul_f64 v[18:19], v[14:15], v[238:239]
	v_fma_f64 v[52:53], v[52:53], 2.0, -v[66:67]
	v_add_f64 v[36:37], v[20:21], -v[36:37]
	v_add_f64 v[16:17], v[40:41], -v[16:17]
	s_delay_alu instid0(VALU_DEP_4) | instskip(SKIP_1) | instid1(VALU_DEP_4)
	v_fma_f64 v[18:19], v[12:13], v[236:237], -v[18:19]
	v_mul_f64 v[12:13], v[12:13], v[238:239]
	v_fma_f64 v[20:21], v[20:21], 2.0, -v[36:37]
	s_delay_alu instid0(VALU_DEP_4) | instskip(SKIP_1) | instid1(VALU_DEP_4)
	v_fma_f64 v[40:41], v[40:41], 2.0, -v[16:17]
	v_add_f64 v[16:17], v[54:55], -v[16:17]
	v_fma_f64 v[12:13], v[14:15], v[236:237], v[12:13]
	v_add_f64 v[14:15], v[8:9], -v[46:47]
	v_add_f64 v[46:47], v[10:11], -v[48:49]
	;; [unrolled: 1-line block ×6, first 2 shown]
	v_fma_f64 v[70:71], v[74:75], 2.0, -v[50:51]
	v_fma_f64 v[50:51], v[50:51], 2.0, -v[68:69]
	v_add_f64 v[40:41], v[24:25], -v[40:41]
	v_fma_f64 v[54:55], v[54:55], 2.0, -v[16:17]
	v_add_f64 v[12:13], v[44:45], -v[12:13]
	v_fma_f64 v[8:9], v[8:9], 2.0, -v[14:15]
	v_fma_f64 v[10:11], v[10:11], 2.0, -v[46:47]
	;; [unrolled: 1-line block ×5, first 2 shown]
	v_add_f64 v[62:63], v[14:15], -v[62:63]
	v_add_f64 v[48:49], v[46:47], v[48:49]
	v_add_f64 v[64:65], v[56:57], v[64:65]
	v_fma_f64 v[42:43], v[42:43], 2.0, -v[18:19]
	v_add_f64 v[34:35], v[70:71], -v[34:35]
	v_add_f64 v[18:19], v[60:61], v[18:19]
	v_fma_f64 v[24:25], v[24:25], 2.0, -v[40:41]
	v_fma_f64 v[44:45], v[44:45], 2.0, -v[12:13]
	v_add_f64 v[12:13], v[58:59], -v[12:13]
	v_add_f64 v[30:31], v[8:9], -v[30:31]
	;; [unrolled: 1-line block ×4, first 2 shown]
	v_fma_f64 v[14:15], v[14:15], 2.0, -v[62:63]
	v_fma_f64 v[46:47], v[46:47], 2.0, -v[48:49]
	;; [unrolled: 1-line block ×3, first 2 shown]
	v_add_f64 v[42:43], v[26:27], -v[42:43]
	v_fma_f64 v[70:71], v[70:71], 2.0, -v[34:35]
	v_fma_f64 v[60:61], v[60:61], 2.0, -v[18:19]
	v_add_f64 v[44:45], v[28:29], -v[44:45]
	v_fma_f64 v[58:59], v[58:59], 2.0, -v[12:13]
	v_fma_f64 v[8:9], v[8:9], 2.0, -v[30:31]
	v_fma_f64 v[10:11], v[10:11], 2.0, -v[32:33]
	v_fma_f64 v[22:23], v[22:23], 2.0, -v[38:39]
	v_add_f64 v[80:81], v[32:33], v[38:39]
	v_add_f64 v[78:79], v[30:31], -v[40:41]
	v_fma_f64 v[26:27], v[26:27], 2.0, -v[42:43]
	v_add_f64 v[86:87], v[36:37], v[42:43]
	v_fma_f64 v[28:29], v[28:29], 2.0, -v[44:45]
	v_add_f64 v[74:75], v[10:11], -v[24:25]
	v_add_f64 v[72:73], v[8:9], -v[22:23]
	v_fma_f64 v[22:23], v[54:55], s[0:1], v[14:15]
	v_fma_f64 v[24:25], v[56:57], s[0:1], v[46:47]
	v_fma_f64 v[40:41], v[32:33], 2.0, -v[80:81]
	v_fma_f64 v[32:33], v[18:19], s[2:3], v[66:67]
	v_fma_f64 v[38:39], v[30:31], 2.0, -v[78:79]
	v_fma_f64 v[10:11], v[10:11], 2.0, -v[74:75]
	;; [unrolled: 1-line block ×3, first 2 shown]
	v_fma_f64 v[56:57], v[56:57], s[0:1], v[22:23]
	v_fma_f64 v[76:77], v[54:55], s[2:3], v[24:25]
	;; [unrolled: 1-line block ×4, first 2 shown]
	s_delay_alu instid0(VALU_DEP_4) | instskip(SKIP_1) | instid1(VALU_DEP_4)
	v_fma_f64 v[24:25], v[14:15], 2.0, -v[56:57]
	v_fma_f64 v[14:15], v[16:17], s[2:3], v[62:63]
	v_fma_f64 v[84:85], v[16:17], s[2:3], v[22:23]
	;; [unrolled: 1-line block ×3, first 2 shown]
	v_fma_f64 v[46:47], v[46:47], 2.0, -v[76:77]
	s_delay_alu instid0(VALU_DEP_4)
	v_fma_f64 v[82:83], v[64:65], s[0:1], v[14:15]
	v_add_f64 v[64:65], v[20:21], -v[28:29]
	v_fma_f64 v[28:29], v[36:37], 2.0, -v[86:87]
	v_fma_f64 v[48:49], v[48:49], 2.0, -v[84:85]
	;; [unrolled: 1-line block ×4, first 2 shown]
	v_add_f64 v[62:63], v[70:71], -v[26:27]
	v_fma_f64 v[16:17], v[20:21], 2.0, -v[64:65]
	v_fma_f64 v[20:21], v[58:59], s[0:1], v[50:51]
	v_fma_f64 v[58:59], v[58:59], s[2:3], v[22:23]
	v_fma_f64 v[26:27], v[12:13], s[2:3], v[68:69]
	v_fma_f64 v[14:15], v[70:71], 2.0, -v[62:63]
	v_add_f64 v[70:71], v[34:35], -v[44:45]
	v_fma_f64 v[60:61], v[60:61], s[0:1], v[20:21]
	v_fma_f64 v[20:21], v[52:53], 2.0, -v[58:59]
	v_fma_f64 v[92:93], v[18:19], s[0:1], v[26:27]
	v_add_f64 v[44:45], v[72:73], -v[64:65]
	v_add_f64 v[12:13], v[8:9], -v[14:15]
	;; [unrolled: 1-line block ×3, first 2 shown]
	v_fma_f64 v[22:23], v[50:51], 2.0, -v[60:61]
	v_fma_f64 v[30:31], v[34:35], 2.0, -v[70:71]
	;; [unrolled: 1-line block ×5, first 2 shown]
	v_fma_f64 v[8:9], v[22:23], s[16:17], v[24:25]
	v_fma_f64 v[10:11], v[20:21], s[16:17], v[46:47]
	s_delay_alu instid0(VALU_DEP_2) | instskip(NEXT) | instid1(VALU_DEP_2)
	v_fma_f64 v[20:21], v[20:21], s[12:13], v[8:9]
	v_fma_f64 v[22:23], v[22:23], s[10:11], v[10:11]
	;; [unrolled: 1-line block ×4, first 2 shown]
	s_delay_alu instid0(VALU_DEP_4) | instskip(NEXT) | instid1(VALU_DEP_4)
	v_fma_f64 v[24:25], v[24:25], 2.0, -v[20:21]
	v_fma_f64 v[26:27], v[46:47], 2.0, -v[22:23]
	s_delay_alu instid0(VALU_DEP_4) | instskip(NEXT) | instid1(VALU_DEP_4)
	v_fma_f64 v[28:29], v[28:29], s[0:1], v[8:9]
	v_fma_f64 v[30:31], v[30:31], s[2:3], v[10:11]
	;; [unrolled: 1-line block ×4, first 2 shown]
	v_add_f64 v[46:47], v[74:75], v[62:63]
	v_fma_f64 v[32:33], v[38:39], 2.0, -v[28:29]
	v_fma_f64 v[34:35], v[40:41], 2.0, -v[30:31]
	v_fma_f64 v[36:37], v[36:37], s[16:17], v[8:9]
	v_fma_f64 v[38:39], v[42:43], s[14:15], v[10:11]
	v_fma_f64 v[8:9], v[60:61], s[10:11], v[56:57]
	v_fma_f64 v[10:11], v[58:59], s[10:11], v[76:77]
	v_fma_f64 v[50:51], v[74:75], 2.0, -v[46:47]
	v_fma_f64 v[40:41], v[54:55], 2.0, -v[36:37]
	;; [unrolled: 1-line block ×3, first 2 shown]
	v_fma_f64 v[52:53], v[58:59], s[16:17], v[8:9]
	v_fma_f64 v[54:55], v[60:61], s[14:15], v[10:11]
	;; [unrolled: 1-line block ×4, first 2 shown]
	v_fma_f64 v[48:49], v[72:73], 2.0, -v[44:45]
	v_fma_f64 v[56:57], v[56:57], 2.0, -v[52:53]
	;; [unrolled: 1-line block ×3, first 2 shown]
	v_fma_f64 v[60:61], v[86:87], s[0:1], v[8:9]
	v_fma_f64 v[62:63], v[70:71], s[2:3], v[10:11]
	;; [unrolled: 1-line block ×4, first 2 shown]
	s_delay_alu instid0(VALU_DEP_4) | instskip(NEXT) | instid1(VALU_DEP_4)
	v_fma_f64 v[64:65], v[78:79], 2.0, -v[60:61]
	v_fma_f64 v[66:67], v[80:81], 2.0, -v[62:63]
	s_delay_alu instid0(VALU_DEP_4) | instskip(NEXT) | instid1(VALU_DEP_4)
	v_fma_f64 v[8:9], v[94:95], s[12:13], v[8:9]
	v_fma_f64 v[10:11], v[92:93], s[10:11], v[10:11]
	s_delay_alu instid0(VALU_DEP_2) | instskip(NEXT) | instid1(VALU_DEP_2)
	v_fma_f64 v[68:69], v[82:83], 2.0, -v[8:9]
	v_fma_f64 v[70:71], v[84:85], 2.0, -v[10:11]
	ds_store_b128 v88, v[16:19]
	ds_store_b128 v88, v[24:27] offset:2000
	ds_store_b128 v88, v[32:35] offset:4000
	;; [unrolled: 1-line block ×15, first 2 shown]
	s_waitcnt lgkmcnt(0)
	s_waitcnt_vscnt null, 0x0
	s_barrier
	buffer_gl0_inv
	scratch_load_b64 v[18:19], off, off     ; 8-byte Folded Reload
	ds_load_b128 v[14:17], v88
	v_add_co_u32 v12, s0, 0x7d00, v90
	s_delay_alu instid0(VALU_DEP_1) | instskip(SKIP_1) | instid1(VALU_DEP_1)
	v_add_co_ci_u32_e64 v13, s0, 0, v91, s0
	v_add_co_u32 v26, s0, 0x9000, v90
	v_add_co_ci_u32_e64 v27, s0, 0, v91, s0
	v_add_co_u32 v28, s0, 0xa000, v90
	s_delay_alu instid0(VALU_DEP_1) | instskip(SKIP_1) | instid1(VALU_DEP_1)
	v_add_co_ci_u32_e64 v29, s0, 0, v91, s0
	v_add_co_u32 v30, s0, 0xc000, v90
	v_add_co_ci_u32_e64 v31, s0, 0, v91, s0
	v_add_co_u32 v32, s0, 0xe000, v90
	s_delay_alu instid0(VALU_DEP_1) | instskip(SKIP_4) | instid1(VALU_DEP_1)
	v_add_co_ci_u32_e64 v33, s0, 0, v91, s0
	s_waitcnt vmcnt(0)
	global_load_b128 v[18:21], v[18:19], off offset:3328
	s_waitcnt vmcnt(0) lgkmcnt(0)
	v_mul_f64 v[22:23], v[16:17], v[20:21]
	v_fma_f64 v[22:23], v[14:15], v[18:19], -v[22:23]
	v_mul_f64 v[14:15], v[14:15], v[20:21]
	s_delay_alu instid0(VALU_DEP_1)
	v_fma_f64 v[24:25], v[16:17], v[18:19], v[14:15]
	global_load_b128 v[18:21], v[26:27], off offset:1536
	ds_load_b128 v[14:17], v88 offset:6400
	ds_store_b128 v88, v[22:25]
	s_waitcnt vmcnt(0) lgkmcnt(1)
	v_mul_f64 v[22:23], v[16:17], v[20:21]
	s_delay_alu instid0(VALU_DEP_1) | instskip(SKIP_1) | instid1(VALU_DEP_1)
	v_fma_f64 v[22:23], v[14:15], v[18:19], -v[22:23]
	v_mul_f64 v[14:15], v[14:15], v[20:21]
	v_fma_f64 v[24:25], v[16:17], v[18:19], v[14:15]
	global_load_b128 v[18:21], v[28:29], off offset:3840
	ds_load_b128 v[14:17], v88 offset:12800
	ds_store_b128 v88, v[22:25] offset:6400
	s_waitcnt vmcnt(0) lgkmcnt(1)
	v_mul_f64 v[22:23], v[16:17], v[20:21]
	s_delay_alu instid0(VALU_DEP_1) | instskip(SKIP_1) | instid1(VALU_DEP_1)
	v_fma_f64 v[22:23], v[14:15], v[18:19], -v[22:23]
	v_mul_f64 v[14:15], v[14:15], v[20:21]
	v_fma_f64 v[24:25], v[16:17], v[18:19], v[14:15]
	global_load_b128 v[18:21], v[30:31], off offset:2048
	ds_load_b128 v[14:17], v88 offset:19200
	ds_store_b128 v88, v[22:25] offset:12800
	;; [unrolled: 9-line block ×4, first 2 shown]
	s_waitcnt vmcnt(0) lgkmcnt(1)
	v_mul_f64 v[22:23], v[16:17], v[20:21]
	s_delay_alu instid0(VALU_DEP_1) | instskip(SKIP_1) | instid1(VALU_DEP_1)
	v_fma_f64 v[22:23], v[14:15], v[18:19], -v[22:23]
	v_mul_f64 v[14:15], v[14:15], v[20:21]
	v_fma_f64 v[24:25], v[16:17], v[18:19], v[14:15]
	global_load_b128 v[18:21], v[26:27], off offset:3536
	ds_load_b128 v[14:17], v88 offset:8400
	v_add_co_u32 v26, s0, 0xb000, v90
	s_delay_alu instid0(VALU_DEP_1) | instskip(SKIP_3) | instid1(VALU_DEP_1)
	v_add_co_ci_u32_e64 v27, s0, 0, v91, s0
	ds_store_b128 v88, v[22:25] offset:2000
	s_waitcnt vmcnt(0) lgkmcnt(1)
	v_mul_f64 v[22:23], v[16:17], v[20:21]
	v_fma_f64 v[22:23], v[14:15], v[18:19], -v[22:23]
	v_mul_f64 v[14:15], v[14:15], v[20:21]
	s_delay_alu instid0(VALU_DEP_1)
	v_fma_f64 v[24:25], v[16:17], v[18:19], v[14:15]
	global_load_b128 v[18:21], v[26:27], off offset:1744
	ds_load_b128 v[14:17], v88 offset:14800
	ds_store_b128 v88, v[22:25] offset:8400
	s_waitcnt vmcnt(0) lgkmcnt(1)
	v_mul_f64 v[22:23], v[16:17], v[20:21]
	s_delay_alu instid0(VALU_DEP_1) | instskip(SKIP_1) | instid1(VALU_DEP_1)
	v_fma_f64 v[22:23], v[14:15], v[18:19], -v[22:23]
	v_mul_f64 v[14:15], v[14:15], v[20:21]
	v_fma_f64 v[24:25], v[16:17], v[18:19], v[14:15]
	global_load_b128 v[18:21], v[30:31], off offset:4048
	ds_load_b128 v[14:17], v88 offset:21200
	ds_store_b128 v88, v[22:25] offset:14800
	s_waitcnt vmcnt(0) lgkmcnt(1)
	v_mul_f64 v[22:23], v[16:17], v[20:21]
	s_delay_alu instid0(VALU_DEP_1) | instskip(SKIP_1) | instid1(VALU_DEP_1)
	v_fma_f64 v[22:23], v[14:15], v[18:19], -v[22:23]
	v_mul_f64 v[14:15], v[14:15], v[20:21]
	;; [unrolled: 9-line block ×6, first 2 shown]
	v_fma_f64 v[24:25], v[16:17], v[18:19], v[14:15]
	v_add_co_u32 v18, s0, 0xd000, v90
	s_delay_alu instid0(VALU_DEP_1)
	v_add_co_ci_u32_e64 v19, s0, 0, v91, s0
	ds_load_b128 v[14:17], v88 offset:23200
	global_load_b128 v[18:21], v[18:19], off offset:1952
	ds_store_b128 v88, v[22:25] offset:16800
	s_waitcnt vmcnt(0) lgkmcnt(1)
	v_mul_f64 v[22:23], v[16:17], v[20:21]
	s_delay_alu instid0(VALU_DEP_1) | instskip(SKIP_1) | instid1(VALU_DEP_1)
	v_fma_f64 v[22:23], v[14:15], v[18:19], -v[22:23]
	v_mul_f64 v[14:15], v[14:15], v[20:21]
	v_fma_f64 v[24:25], v[16:17], v[18:19], v[14:15]
	v_add_co_u32 v18, s0, 0xf000, v90
	s_delay_alu instid0(VALU_DEP_1)
	v_add_co_ci_u32_e64 v19, s0, 0, v91, s0
	ds_load_b128 v[14:17], v88 offset:29600
	global_load_b128 v[18:21], v[18:19], off offset:160
	ds_store_b128 v88, v[22:25] offset:23200
	s_waitcnt vmcnt(0) lgkmcnt(1)
	v_mul_f64 v[22:23], v[16:17], v[20:21]
	s_delay_alu instid0(VALU_DEP_1) | instskip(SKIP_1) | instid1(VALU_DEP_1)
	v_fma_f64 v[22:23], v[14:15], v[18:19], -v[22:23]
	v_mul_f64 v[14:15], v[14:15], v[20:21]
	v_fma_f64 v[24:25], v[16:17], v[18:19], v[14:15]
	ds_store_b128 v88, v[22:25] offset:29600
	s_and_saveexec_b32 s1, vcc_lo
	s_cbranch_execz .LBB0_17
; %bb.16:
	v_add_co_u32 v14, s0, 0x1000, v12
	s_delay_alu instid0(VALU_DEP_1) | instskip(SKIP_1) | instid1(VALU_DEP_1)
	v_add_co_ci_u32_e64 v15, s0, 0, v13, s0
	v_add_co_u32 v18, s0, 0x3000, v12
	v_add_co_ci_u32_e64 v19, s0, 0, v13, s0
	global_load_b128 v[14:17], v[14:15], off offset:1904
	v_add_co_u32 v22, s0, 0x4000, v12
	global_load_b128 v[18:21], v[18:19], off offset:112
	v_add_co_ci_u32_e64 v23, s0, 0, v13, s0
	v_add_co_u32 v26, s0, 0x6000, v12
	s_delay_alu instid0(VALU_DEP_1) | instskip(SKIP_2) | instid1(VALU_DEP_1)
	v_add_co_ci_u32_e64 v27, s0, 0, v13, s0
	global_load_b128 v[22:25], v[22:23], off offset:2416
	v_add_co_u32 v12, s0, 0x7000, v12
	v_add_co_ci_u32_e64 v13, s0, 0, v13, s0
	global_load_b128 v[26:29], v[26:27], off offset:624
	ds_load_b128 v[34:37], v88 offset:6000
	ds_load_b128 v[38:41], v88 offset:12400
	global_load_b128 v[30:33], v[12:13], off offset:2928
	s_waitcnt vmcnt(4) lgkmcnt(1)
	v_mul_f64 v[12:13], v[36:37], v[16:17]
	v_mul_f64 v[16:17], v[34:35], v[16:17]
	s_waitcnt vmcnt(3) lgkmcnt(0)
	v_mul_f64 v[42:43], v[40:41], v[20:21]
	v_mul_f64 v[20:21], v[38:39], v[20:21]
	s_delay_alu instid0(VALU_DEP_4) | instskip(NEXT) | instid1(VALU_DEP_4)
	v_fma_f64 v[12:13], v[34:35], v[14:15], -v[12:13]
	v_fma_f64 v[14:15], v[36:37], v[14:15], v[16:17]
	ds_load_b128 v[34:37], v88 offset:18800
	v_fma_f64 v[16:17], v[38:39], v[18:19], -v[42:43]
	v_fma_f64 v[18:19], v[40:41], v[18:19], v[20:21]
	ds_load_b128 v[38:41], v88 offset:25200
	s_waitcnt vmcnt(2) lgkmcnt(1)
	v_mul_f64 v[44:45], v[36:37], v[24:25]
	v_mul_f64 v[24:25], v[34:35], v[24:25]
	s_waitcnt vmcnt(1) lgkmcnt(0)
	v_mul_f64 v[42:43], v[40:41], v[28:29]
	v_mul_f64 v[28:29], v[38:39], v[28:29]
	s_delay_alu instid0(VALU_DEP_4) | instskip(NEXT) | instid1(VALU_DEP_4)
	v_fma_f64 v[20:21], v[34:35], v[22:23], -v[44:45]
	v_fma_f64 v[22:23], v[36:37], v[22:23], v[24:25]
	ds_load_b128 v[34:37], v88 offset:31600
	v_fma_f64 v[24:25], v[38:39], v[26:27], -v[42:43]
	v_fma_f64 v[26:27], v[40:41], v[26:27], v[28:29]
	s_waitcnt vmcnt(0) lgkmcnt(0)
	v_mul_f64 v[44:45], v[36:37], v[32:33]
	v_mul_f64 v[32:33], v[34:35], v[32:33]
	s_delay_alu instid0(VALU_DEP_2) | instskip(NEXT) | instid1(VALU_DEP_2)
	v_fma_f64 v[28:29], v[34:35], v[30:31], -v[44:45]
	v_fma_f64 v[30:31], v[36:37], v[30:31], v[32:33]
	ds_store_b128 v88, v[12:15] offset:6000
	ds_store_b128 v88, v[16:19] offset:12400
	;; [unrolled: 1-line block ×5, first 2 shown]
.LBB0_17:
	s_or_b32 exec_lo, exec_lo, s1
	s_waitcnt lgkmcnt(0)
	s_barrier
	buffer_gl0_inv
	ds_load_b128 v[28:31], v88
	ds_load_b128 v[60:63], v88 offset:2000
	ds_load_b128 v[52:55], v88 offset:12800
	;; [unrolled: 1-line block ×14, first 2 shown]
	s_and_saveexec_b32 s0, vcc_lo
	s_cbranch_execz .LBB0_19
; %bb.18:
	ds_load_b128 v[8:11], v88 offset:6000
	ds_load_b128 v[248:251], v88 offset:12400
	;; [unrolled: 1-line block ×5, first 2 shown]
.LBB0_19:
	s_or_b32 exec_lo, exec_lo, s0
	s_waitcnt lgkmcnt(8)
	v_add_f64 v[16:17], v[28:29], v[64:65]
	v_add_f64 v[18:19], v[66:67], -v[50:51]
	s_mov_b32 s12, 0x134454ff
	s_mov_b32 s13, 0xbfee6f0e
	s_waitcnt lgkmcnt(4)
	v_add_f64 v[26:27], v[54:55], -v[58:59]
	v_add_f64 v[24:25], v[64:65], -v[52:53]
	;; [unrolled: 1-line block ×3, first 2 shown]
	s_mov_b32 s0, 0x4755a5e
	s_mov_b32 s1, 0xbfe2cf23
	;; [unrolled: 1-line block ×8, first 2 shown]
	v_add_f64 v[34:35], v[56:57], -v[48:49]
	s_waitcnt lgkmcnt(0)
	v_add_f64 v[90:91], v[254:255], -v[6:7]
	s_barrier
	buffer_gl0_inv
	v_add_f64 v[16:17], v[16:17], v[52:53]
	v_add_f64 v[32:33], v[24:25], v[32:33]
	s_delay_alu instid0(VALU_DEP_2) | instskip(NEXT) | instid1(VALU_DEP_1)
	v_add_f64 v[16:17], v[16:17], v[56:57]
	v_add_f64 v[20:21], v[16:17], v[48:49]
	;; [unrolled: 1-line block ×3, first 2 shown]
	s_delay_alu instid0(VALU_DEP_1) | instskip(NEXT) | instid1(VALU_DEP_1)
	v_fma_f64 v[16:17], v[16:17], -0.5, v[28:29]
	v_fma_f64 v[22:23], v[18:19], s[12:13], v[16:17]
	v_fma_f64 v[16:17], v[18:19], s[10:11], v[16:17]
	s_delay_alu instid0(VALU_DEP_2) | instskip(NEXT) | instid1(VALU_DEP_2)
	v_fma_f64 v[22:23], v[26:27], s[0:1], v[22:23]
	v_fma_f64 v[16:17], v[26:27], s[14:15], v[16:17]
	s_delay_alu instid0(VALU_DEP_2) | instskip(SKIP_1) | instid1(VALU_DEP_3)
	v_fma_f64 v[24:25], v[32:33], s[2:3], v[22:23]
	v_add_f64 v[22:23], v[64:65], v[48:49]
	v_fma_f64 v[16:17], v[32:33], s[2:3], v[16:17]
	v_add_f64 v[32:33], v[52:53], -v[64:65]
	v_add_f64 v[48:49], v[64:65], -v[48:49]
	;; [unrolled: 1-line block ×5, first 2 shown]
	v_fma_f64 v[22:23], v[22:23], -0.5, v[28:29]
	v_add_f64 v[34:35], v[32:33], v[34:35]
	s_delay_alu instid0(VALU_DEP_2) | instskip(SKIP_1) | instid1(VALU_DEP_2)
	v_fma_f64 v[28:29], v[26:27], s[10:11], v[22:23]
	v_fma_f64 v[22:23], v[26:27], s[12:13], v[22:23]
	;; [unrolled: 1-line block ×3, first 2 shown]
	s_delay_alu instid0(VALU_DEP_2) | instskip(NEXT) | instid1(VALU_DEP_2)
	v_fma_f64 v[18:19], v[18:19], s[14:15], v[22:23]
	v_fma_f64 v[32:33], v[34:35], s[2:3], v[28:29]
	s_delay_alu instid0(VALU_DEP_2) | instskip(SKIP_2) | instid1(VALU_DEP_2)
	v_fma_f64 v[28:29], v[34:35], s[2:3], v[18:19]
	v_add_f64 v[18:19], v[30:31], v[66:67]
	v_add_f64 v[34:35], v[66:67], -v[54:55]
	v_add_f64 v[18:19], v[18:19], v[54:55]
	s_delay_alu instid0(VALU_DEP_2) | instskip(SKIP_1) | instid1(VALU_DEP_3)
	v_add_f64 v[34:35], v[34:35], v[56:57]
	v_add_f64 v[56:57], v[84:85], -v[76:77]
	v_add_f64 v[18:19], v[18:19], v[58:59]
	s_delay_alu instid0(VALU_DEP_2) | instskip(NEXT) | instid1(VALU_DEP_2)
	v_add_f64 v[64:65], v[56:57], v[64:65]
	v_add_f64 v[22:23], v[18:19], v[50:51]
	;; [unrolled: 1-line block ×3, first 2 shown]
	v_add_f64 v[54:55], v[54:55], -v[66:67]
	s_delay_alu instid0(VALU_DEP_2) | instskip(NEXT) | instid1(VALU_DEP_1)
	v_fma_f64 v[18:19], v[18:19], -0.5, v[30:31]
	v_fma_f64 v[26:27], v[48:49], s[10:11], v[18:19]
	v_fma_f64 v[18:19], v[48:49], s[12:13], v[18:19]
	s_delay_alu instid0(VALU_DEP_2) | instskip(NEXT) | instid1(VALU_DEP_2)
	v_fma_f64 v[26:27], v[52:53], s[14:15], v[26:27]
	v_fma_f64 v[18:19], v[52:53], s[0:1], v[18:19]
	s_delay_alu instid0(VALU_DEP_2) | instskip(NEXT) | instid1(VALU_DEP_2)
	v_fma_f64 v[26:27], v[34:35], s[2:3], v[26:27]
	v_fma_f64 v[18:19], v[34:35], s[2:3], v[18:19]
	v_add_f64 v[34:35], v[66:67], v[50:51]
	v_add_f64 v[50:51], v[58:59], -v[50:51]
	v_add_f64 v[58:59], v[78:79], -v[82:83]
	;; [unrolled: 1-line block ×3, first 2 shown]
	s_delay_alu instid0(VALU_DEP_4) | instskip(NEXT) | instid1(VALU_DEP_4)
	v_fma_f64 v[30:31], v[34:35], -0.5, v[30:31]
	v_add_f64 v[50:51], v[54:55], v[50:51]
	s_delay_alu instid0(VALU_DEP_2) | instskip(SKIP_1) | instid1(VALU_DEP_2)
	v_fma_f64 v[34:35], v[52:53], s[12:13], v[30:31]
	v_fma_f64 v[30:31], v[52:53], s[10:11], v[30:31]
	;; [unrolled: 1-line block ×3, first 2 shown]
	s_delay_alu instid0(VALU_DEP_2) | instskip(SKIP_1) | instid1(VALU_DEP_3)
	v_fma_f64 v[30:31], v[48:49], s[0:1], v[30:31]
	v_add_f64 v[48:49], v[60:61], v[84:85]
	v_fma_f64 v[34:35], v[50:51], s[2:3], v[34:35]
	s_delay_alu instid0(VALU_DEP_3) | instskip(NEXT) | instid1(VALU_DEP_3)
	v_fma_f64 v[30:31], v[50:51], s[2:3], v[30:31]
	v_add_f64 v[48:49], v[48:49], v[76:77]
	v_add_f64 v[50:51], v[86:87], -v[74:75]
	s_delay_alu instid0(VALU_DEP_2) | instskip(NEXT) | instid1(VALU_DEP_1)
	v_add_f64 v[48:49], v[48:49], v[80:81]
	v_add_f64 v[52:53], v[48:49], v[72:73]
	;; [unrolled: 1-line block ×3, first 2 shown]
	s_delay_alu instid0(VALU_DEP_1) | instskip(NEXT) | instid1(VALU_DEP_1)
	v_fma_f64 v[48:49], v[48:49], -0.5, v[60:61]
	v_fma_f64 v[54:55], v[50:51], s[12:13], v[48:49]
	v_fma_f64 v[48:49], v[50:51], s[10:11], v[48:49]
	s_delay_alu instid0(VALU_DEP_2) | instskip(NEXT) | instid1(VALU_DEP_2)
	v_fma_f64 v[54:55], v[58:59], s[0:1], v[54:55]
	v_fma_f64 v[48:49], v[58:59], s[14:15], v[48:49]
	s_delay_alu instid0(VALU_DEP_2) | instskip(SKIP_1) | instid1(VALU_DEP_3)
	v_fma_f64 v[56:57], v[64:65], s[2:3], v[54:55]
	v_add_f64 v[54:55], v[84:85], v[72:73]
	v_fma_f64 v[48:49], v[64:65], s[2:3], v[48:49]
	v_add_f64 v[64:65], v[76:77], -v[84:85]
	v_add_f64 v[72:73], v[84:85], -v[72:73]
	;; [unrolled: 1-line block ×5, first 2 shown]
	v_fma_f64 v[54:55], v[54:55], -0.5, v[60:61]
	v_add_f64 v[66:67], v[64:65], v[66:67]
	s_delay_alu instid0(VALU_DEP_2) | instskip(SKIP_1) | instid1(VALU_DEP_2)
	v_fma_f64 v[60:61], v[58:59], s[10:11], v[54:55]
	v_fma_f64 v[54:55], v[58:59], s[12:13], v[54:55]
	;; [unrolled: 1-line block ×3, first 2 shown]
	s_delay_alu instid0(VALU_DEP_2) | instskip(NEXT) | instid1(VALU_DEP_2)
	v_fma_f64 v[50:51], v[50:51], s[14:15], v[54:55]
	v_fma_f64 v[64:65], v[66:67], s[2:3], v[60:61]
	s_delay_alu instid0(VALU_DEP_2) | instskip(SKIP_2) | instid1(VALU_DEP_2)
	v_fma_f64 v[60:61], v[66:67], s[2:3], v[50:51]
	v_add_f64 v[50:51], v[62:63], v[86:87]
	v_add_f64 v[66:67], v[86:87], -v[78:79]
	v_add_f64 v[50:51], v[50:51], v[78:79]
	s_delay_alu instid0(VALU_DEP_2) | instskip(SKIP_1) | instid1(VALU_DEP_3)
	v_add_f64 v[66:67], v[66:67], v[80:81]
	v_add_f64 v[80:81], v[40:41], -v[44:45]
	v_add_f64 v[50:51], v[50:51], v[82:83]
	s_delay_alu instid0(VALU_DEP_2) | instskip(NEXT) | instid1(VALU_DEP_2)
	v_add_f64 v[84:85], v[80:81], v[84:85]
	v_add_f64 v[54:55], v[50:51], v[74:75]
	;; [unrolled: 1-line block ×3, first 2 shown]
	v_add_f64 v[78:79], v[78:79], -v[86:87]
	s_delay_alu instid0(VALU_DEP_2) | instskip(NEXT) | instid1(VALU_DEP_1)
	v_fma_f64 v[50:51], v[50:51], -0.5, v[62:63]
	v_fma_f64 v[58:59], v[72:73], s[10:11], v[50:51]
	v_fma_f64 v[50:51], v[72:73], s[12:13], v[50:51]
	s_delay_alu instid0(VALU_DEP_2) | instskip(NEXT) | instid1(VALU_DEP_2)
	v_fma_f64 v[58:59], v[76:77], s[14:15], v[58:59]
	v_fma_f64 v[50:51], v[76:77], s[0:1], v[50:51]
	s_delay_alu instid0(VALU_DEP_2) | instskip(NEXT) | instid1(VALU_DEP_2)
	v_fma_f64 v[58:59], v[66:67], s[2:3], v[58:59]
	v_fma_f64 v[50:51], v[66:67], s[2:3], v[50:51]
	v_add_f64 v[66:67], v[86:87], v[74:75]
	v_add_f64 v[74:75], v[82:83], -v[74:75]
	v_add_f64 v[82:83], v[46:47], -v[14:15]
	;; [unrolled: 1-line block ×3, first 2 shown]
	s_delay_alu instid0(VALU_DEP_4) | instskip(NEXT) | instid1(VALU_DEP_4)
	v_fma_f64 v[62:63], v[66:67], -0.5, v[62:63]
	v_add_f64 v[74:75], v[78:79], v[74:75]
	s_delay_alu instid0(VALU_DEP_2) | instskip(SKIP_1) | instid1(VALU_DEP_2)
	v_fma_f64 v[66:67], v[76:77], s[12:13], v[62:63]
	v_fma_f64 v[62:63], v[76:77], s[10:11], v[62:63]
	;; [unrolled: 1-line block ×3, first 2 shown]
	s_delay_alu instid0(VALU_DEP_2) | instskip(SKIP_1) | instid1(VALU_DEP_3)
	v_fma_f64 v[62:63], v[72:73], s[0:1], v[62:63]
	v_add_f64 v[72:73], v[68:69], v[40:41]
	v_fma_f64 v[66:67], v[74:75], s[2:3], v[66:67]
	s_delay_alu instid0(VALU_DEP_3) | instskip(NEXT) | instid1(VALU_DEP_3)
	v_fma_f64 v[62:63], v[74:75], s[2:3], v[62:63]
	v_add_f64 v[72:73], v[72:73], v[44:45]
	v_add_f64 v[74:75], v[42:43], -v[38:39]
	s_delay_alu instid0(VALU_DEP_2) | instskip(NEXT) | instid1(VALU_DEP_1)
	v_add_f64 v[72:73], v[72:73], v[12:13]
	v_add_f64 v[76:77], v[72:73], v[36:37]
	;; [unrolled: 1-line block ×3, first 2 shown]
	v_add_f64 v[12:13], v[44:45], -v[12:13]
	s_delay_alu instid0(VALU_DEP_2) | instskip(NEXT) | instid1(VALU_DEP_1)
	v_fma_f64 v[72:73], v[72:73], -0.5, v[68:69]
	v_fma_f64 v[78:79], v[74:75], s[12:13], v[72:73]
	v_fma_f64 v[72:73], v[74:75], s[10:11], v[72:73]
	s_delay_alu instid0(VALU_DEP_2) | instskip(NEXT) | instid1(VALU_DEP_2)
	v_fma_f64 v[78:79], v[82:83], s[0:1], v[78:79]
	v_fma_f64 v[72:73], v[82:83], s[14:15], v[72:73]
	s_delay_alu instid0(VALU_DEP_2) | instskip(SKIP_1) | instid1(VALU_DEP_3)
	v_fma_f64 v[80:81], v[84:85], s[2:3], v[78:79]
	v_add_f64 v[78:79], v[40:41], v[36:37]
	v_fma_f64 v[72:73], v[84:85], s[2:3], v[72:73]
	v_add_f64 v[84:85], v[44:45], -v[40:41]
	v_add_f64 v[36:37], v[40:41], -v[36:37]
	;; [unrolled: 1-line block ×3, first 2 shown]
	v_fma_f64 v[68:69], v[78:79], -0.5, v[68:69]
	s_delay_alu instid0(VALU_DEP_4) | instskip(NEXT) | instid1(VALU_DEP_2)
	v_add_f64 v[86:87], v[84:85], v[86:87]
	v_fma_f64 v[78:79], v[82:83], s[10:11], v[68:69]
	v_fma_f64 v[68:69], v[82:83], s[12:13], v[68:69]
	v_add_f64 v[82:83], v[38:39], -v[14:15]
	s_delay_alu instid0(VALU_DEP_3) | instskip(NEXT) | instid1(VALU_DEP_3)
	v_fma_f64 v[78:79], v[74:75], s[0:1], v[78:79]
	v_fma_f64 v[68:69], v[74:75], s[14:15], v[68:69]
	v_add_f64 v[74:75], v[70:71], v[42:43]
	s_delay_alu instid0(VALU_DEP_4) | instskip(NEXT) | instid1(VALU_DEP_4)
	v_add_f64 v[44:45], v[44:45], v[82:83]
	v_fma_f64 v[84:85], v[86:87], s[2:3], v[78:79]
	s_delay_alu instid0(VALU_DEP_4) | instskip(NEXT) | instid1(VALU_DEP_4)
	v_fma_f64 v[68:69], v[86:87], s[2:3], v[68:69]
	v_add_f64 v[74:75], v[74:75], v[46:47]
	s_delay_alu instid0(VALU_DEP_1) | instskip(NEXT) | instid1(VALU_DEP_1)
	v_add_f64 v[74:75], v[74:75], v[14:15]
	v_add_f64 v[78:79], v[74:75], v[38:39]
	;; [unrolled: 1-line block ×3, first 2 shown]
	v_add_f64 v[14:15], v[14:15], -v[38:39]
	s_delay_alu instid0(VALU_DEP_2) | instskip(NEXT) | instid1(VALU_DEP_1)
	v_fma_f64 v[74:75], v[74:75], -0.5, v[70:71]
	v_fma_f64 v[40:41], v[36:37], s[10:11], v[74:75]
	s_delay_alu instid0(VALU_DEP_1) | instskip(NEXT) | instid1(VALU_DEP_1)
	v_fma_f64 v[40:41], v[12:13], s[14:15], v[40:41]
	v_fma_f64 v[82:83], v[44:45], s[2:3], v[40:41]
	;; [unrolled: 1-line block ×3, first 2 shown]
	s_delay_alu instid0(VALU_DEP_1) | instskip(NEXT) | instid1(VALU_DEP_1)
	v_fma_f64 v[40:41], v[12:13], s[0:1], v[40:41]
	v_fma_f64 v[74:75], v[44:45], s[2:3], v[40:41]
	v_add_f64 v[40:41], v[42:43], v[38:39]
	v_add_f64 v[42:43], v[46:47], -v[42:43]
	v_add_f64 v[38:39], v[250:251], -v[254:255]
	v_add_f64 v[46:47], v[4:5], -v[252:253]
	s_delay_alu instid0(VALU_DEP_4) | instskip(NEXT) | instid1(VALU_DEP_4)
	v_fma_f64 v[40:41], v[40:41], -0.5, v[70:71]
	v_add_f64 v[14:15], v[42:43], v[14:15]
	v_add_f64 v[42:43], v[2:3], -v[6:7]
	s_delay_alu instid0(VALU_DEP_3) | instskip(SKIP_2) | instid1(VALU_DEP_3)
	v_fma_f64 v[44:45], v[12:13], s[12:13], v[40:41]
	v_fma_f64 v[12:13], v[12:13], s[10:11], v[40:41]
	v_add_f64 v[40:41], v[248:249], -v[0:1]
	v_fma_f64 v[44:45], v[36:37], s[14:15], v[44:45]
	s_delay_alu instid0(VALU_DEP_3) | instskip(NEXT) | instid1(VALU_DEP_2)
	v_fma_f64 v[12:13], v[36:37], s[0:1], v[12:13]
	v_fma_f64 v[86:87], v[14:15], s[2:3], v[44:45]
	s_delay_alu instid0(VALU_DEP_2) | instskip(SKIP_3) | instid1(VALU_DEP_3)
	v_fma_f64 v[70:71], v[14:15], s[2:3], v[12:13]
	v_add_f64 v[14:15], v[0:1], v[4:5]
	v_add_f64 v[44:45], v[252:253], -v[4:5]
	v_add_f64 v[12:13], v[8:9], v[248:249]
	v_fma_f64 v[14:15], v[14:15], -0.5, v[8:9]
	s_delay_alu instid0(VALU_DEP_3) | instskip(SKIP_1) | instid1(VALU_DEP_4)
	v_add_f64 v[40:41], v[40:41], v[44:45]
	v_add_f64 v[44:45], v[0:1], -v[248:249]
	v_add_f64 v[12:13], v[12:13], v[0:1]
	v_add_f64 v[0:1], v[0:1], -v[4:5]
	v_fma_f64 v[36:37], v[38:39], s[12:13], v[14:15]
	v_fma_f64 v[14:15], v[38:39], s[10:11], v[14:15]
	v_add_f64 v[44:45], v[44:45], v[46:47]
	v_add_f64 v[46:47], v[248:249], -v[252:253]
	v_add_f64 v[12:13], v[12:13], v[4:5]
	v_fma_f64 v[36:37], v[42:43], s[0:1], v[36:37]
	v_fma_f64 v[14:15], v[42:43], s[14:15], v[14:15]
	s_delay_alu instid0(VALU_DEP_3) | instskip(NEXT) | instid1(VALU_DEP_3)
	v_add_f64 v[12:13], v[12:13], v[252:253]
	v_fma_f64 v[36:37], v[40:41], s[2:3], v[36:37]
	s_delay_alu instid0(VALU_DEP_3) | instskip(SKIP_1) | instid1(VALU_DEP_1)
	v_fma_f64 v[40:41], v[40:41], s[2:3], v[14:15]
	v_add_f64 v[14:15], v[248:249], v[252:253]
	v_fma_f64 v[14:15], v[14:15], -0.5, v[8:9]
	s_delay_alu instid0(VALU_DEP_1) | instskip(SKIP_1) | instid1(VALU_DEP_2)
	v_fma_f64 v[8:9], v[42:43], s[10:11], v[14:15]
	v_fma_f64 v[14:15], v[42:43], s[12:13], v[14:15]
	;; [unrolled: 1-line block ×3, first 2 shown]
	s_delay_alu instid0(VALU_DEP_2) | instskip(SKIP_1) | instid1(VALU_DEP_3)
	v_fma_f64 v[14:15], v[38:39], s[14:15], v[14:15]
	v_add_f64 v[38:39], v[2:3], v[6:7]
	v_fma_f64 v[8:9], v[44:45], s[2:3], v[8:9]
	s_delay_alu instid0(VALU_DEP_3) | instskip(NEXT) | instid1(VALU_DEP_3)
	v_fma_f64 v[44:45], v[44:45], s[2:3], v[14:15]
	v_fma_f64 v[42:43], v[38:39], -0.5, v[10:11]
	v_add_f64 v[14:15], v[10:11], v[250:251]
	s_delay_alu instid0(VALU_DEP_2) | instskip(NEXT) | instid1(VALU_DEP_2)
	v_fma_f64 v[38:39], v[46:47], s[10:11], v[42:43]
	v_add_f64 v[14:15], v[14:15], v[2:3]
	s_delay_alu instid0(VALU_DEP_2) | instskip(SKIP_1) | instid1(VALU_DEP_3)
	v_fma_f64 v[4:5], v[0:1], s[14:15], v[38:39]
	v_add_f64 v[38:39], v[250:251], -v[2:3]
	v_add_f64 v[14:15], v[14:15], v[6:7]
	v_add_f64 v[2:3], v[2:3], -v[250:251]
	v_add_f64 v[6:7], v[6:7], -v[254:255]
	s_delay_alu instid0(VALU_DEP_4) | instskip(NEXT) | instid1(VALU_DEP_4)
	v_add_f64 v[90:91], v[38:39], v[90:91]
	v_add_f64 v[14:15], v[14:15], v[254:255]
	s_delay_alu instid0(VALU_DEP_3) | instskip(NEXT) | instid1(VALU_DEP_3)
	v_add_f64 v[2:3], v[2:3], v[6:7]
	v_fma_f64 v[38:39], v[90:91], s[2:3], v[4:5]
	v_fma_f64 v[4:5], v[46:47], s[12:13], v[42:43]
	s_delay_alu instid0(VALU_DEP_1) | instskip(NEXT) | instid1(VALU_DEP_1)
	v_fma_f64 v[4:5], v[0:1], s[0:1], v[4:5]
	v_fma_f64 v[42:43], v[90:91], s[2:3], v[4:5]
	v_add_f64 v[4:5], v[250:251], v[254:255]
	s_delay_alu instid0(VALU_DEP_1) | instskip(NEXT) | instid1(VALU_DEP_1)
	v_fma_f64 v[4:5], v[4:5], -0.5, v[10:11]
	v_fma_f64 v[10:11], v[0:1], s[12:13], v[4:5]
	v_fma_f64 v[0:1], v[0:1], s[10:11], v[4:5]
	s_delay_alu instid0(VALU_DEP_2) | instskip(NEXT) | instid1(VALU_DEP_2)
	v_fma_f64 v[10:11], v[46:47], s[14:15], v[10:11]
	v_fma_f64 v[0:1], v[46:47], s[0:1], v[0:1]
	s_delay_alu instid0(VALU_DEP_2) | instskip(NEXT) | instid1(VALU_DEP_2)
	v_fma_f64 v[10:11], v[2:3], s[2:3], v[10:11]
	v_fma_f64 v[46:47], v[2:3], s[2:3], v[0:1]
	scratch_load_b32 v0, off, off offset:376 ; 4-byte Folded Reload
	s_waitcnt vmcnt(0)
	ds_store_b128 v0, v[20:23]
	ds_store_b128 v0, v[24:27] offset:16
	ds_store_b128 v0, v[32:35] offset:32
	ds_store_b128 v0, v[28:31] offset:48
	ds_store_b128 v0, v[16:19] offset:64
	scratch_load_b32 v0, off, off offset:380 ; 4-byte Folded Reload
	s_waitcnt vmcnt(0)
	ds_store_b128 v0, v[52:55]
	ds_store_b128 v0, v[56:59] offset:16
	ds_store_b128 v0, v[64:67] offset:32
	ds_store_b128 v0, v[60:63] offset:48
	ds_store_b128 v0, v[48:51] offset:64
	;; [unrolled: 7-line block ×3, first 2 shown]
	s_and_saveexec_b32 s0, vcc_lo
	s_cbranch_execz .LBB0_21
; %bb.20:
	scratch_load_b32 v0, off, off offset:476 ; 4-byte Folded Reload
	s_waitcnt vmcnt(0)
	v_lshlrev_b32_e32 v0, 4, v0
	ds_store_b128 v0, v[12:15]
	ds_store_b128 v0, v[36:39] offset:16
	ds_store_b128 v0, v[8:11] offset:32
	;; [unrolled: 1-line block ×4, first 2 shown]
.LBB0_21:
	s_or_b32 exec_lo, exec_lo, s0
	s_waitcnt lgkmcnt(0)
	s_barrier
	buffer_gl0_inv
	ds_load_b128 v[20:23], v88
	ds_load_b128 v[4:7], v88 offset:2000
	ds_load_b128 v[68:71], v88 offset:12800
	;; [unrolled: 1-line block ×14, first 2 shown]
	s_and_saveexec_b32 s0, vcc_lo
	s_cbranch_execz .LBB0_23
; %bb.22:
	ds_load_b128 v[12:15], v88 offset:6000
	ds_load_b128 v[36:39], v88 offset:12400
	;; [unrolled: 1-line block ×5, first 2 shown]
.LBB0_23:
	s_or_b32 exec_lo, exec_lo, s0
	s_waitcnt lgkmcnt(8)
	v_mul_f64 v[80:81], v[110:111], v[78:79]
	s_mov_b32 s10, 0x134454ff
	s_mov_b32 s11, 0xbfee6f0e
	;; [unrolled: 1-line block ×10, first 2 shown]
	s_waitcnt lgkmcnt(0)
	s_barrier
	buffer_gl0_inv
	v_fma_f64 v[84:85], v[108:109], v[76:77], v[80:81]
	v_mul_f64 v[76:77], v[110:111], v[76:77]
	s_delay_alu instid0(VALU_DEP_1) | instskip(SKIP_1) | instid1(VALU_DEP_1)
	v_fma_f64 v[86:87], v[108:109], v[78:79], -v[76:77]
	v_mul_f64 v[76:77], v[138:139], v[70:71]
	v_fma_f64 v[90:91], v[136:137], v[68:69], v[76:77]
	v_mul_f64 v[68:69], v[138:139], v[68:69]
	s_delay_alu instid0(VALU_DEP_1) | instskip(SKIP_1) | instid1(VALU_DEP_1)
	v_fma_f64 v[92:93], v[136:137], v[70:71], -v[68:69]
	v_mul_f64 v[68:69], v[134:135], v[74:75]
	;; [unrolled: 5-line block ×9, first 2 shown]
	v_fma_f64 v[56:57], v[168:169], v[28:29], v[32:33]
	v_mul_f64 v[28:29], v[170:171], v[28:29]
	s_delay_alu instid0(VALU_DEP_1) | instskip(SKIP_2) | instid1(VALU_DEP_2)
	v_fma_f64 v[58:59], v[168:169], v[30:31], -v[28:29]
	v_mul_f64 v[28:29], v[162:163], v[26:27]
	v_add_f64 v[30:31], v[86:87], -v[128:129]
	v_fma_f64 v[60:61], v[160:161], v[24:25], v[28:29]
	v_mul_f64 v[24:25], v[162:163], v[24:25]
	v_add_f64 v[28:29], v[92:93], -v[108:109]
	s_delay_alu instid0(VALU_DEP_2) | instskip(SKIP_1) | instid1(VALU_DEP_1)
	v_fma_f64 v[62:63], v[160:161], v[26:27], -v[24:25]
	v_mul_f64 v[24:25], v[158:159], v[18:19]
	v_fma_f64 v[64:65], v[156:157], v[16:17], v[24:25]
	v_mul_f64 v[16:17], v[158:159], v[16:17]
	s_delay_alu instid0(VALU_DEP_1) | instskip(SKIP_1) | instid1(VALU_DEP_1)
	v_fma_f64 v[66:67], v[156:157], v[18:19], -v[16:17]
	v_mul_f64 v[16:17], v[186:187], v[38:39]
	v_fma_f64 v[34:35], v[184:185], v[36:37], v[16:17]
	v_mul_f64 v[16:17], v[186:187], v[36:37]
	s_delay_alu instid0(VALU_DEP_1) | instskip(SKIP_1) | instid1(VALU_DEP_1)
	v_fma_f64 v[32:33], v[184:185], v[38:39], -v[16:17]
	v_mul_f64 v[16:17], v[182:183], v[10:11]
	v_fma_f64 v[48:49], v[180:181], v[8:9], v[16:17]
	v_mul_f64 v[8:9], v[182:183], v[8:9]
	s_delay_alu instid0(VALU_DEP_1) | instskip(SKIP_2) | instid1(VALU_DEP_2)
	v_fma_f64 v[36:37], v[180:181], v[10:11], -v[8:9]
	v_mul_f64 v[8:9], v[178:179], v[46:47]
	v_add_f64 v[10:11], v[94:95], -v[110:111]
	v_fma_f64 v[50:51], v[176:177], v[44:45], v[8:9]
	v_mul_f64 v[8:9], v[178:179], v[44:45]
	s_delay_alu instid0(VALU_DEP_1) | instskip(SKIP_2) | instid1(VALU_DEP_2)
	v_fma_f64 v[38:39], v[176:177], v[46:47], -v[8:9]
	v_mul_f64 v[8:9], v[174:175], v[42:43]
	v_add_f64 v[46:47], v[84:85], -v[110:111]
	v_fma_f64 v[44:45], v[172:173], v[40:41], v[8:9]
	v_mul_f64 v[8:9], v[174:175], v[40:41]
	s_delay_alu instid0(VALU_DEP_1) | instskip(SKIP_2) | instid1(VALU_DEP_2)
	v_fma_f64 v[40:41], v[172:173], v[42:43], -v[8:9]
	v_add_f64 v[8:9], v[90:91], -v[84:85]
	v_add_f64 v[42:43], v[90:91], -v[94:95]
	v_add_f64 v[16:17], v[8:9], v[10:11]
	v_add_f64 v[8:9], v[92:93], -v[86:87]
	v_add_f64 v[10:11], v[108:109], -v[128:129]
	s_delay_alu instid0(VALU_DEP_1) | instskip(SKIP_1) | instid1(VALU_DEP_1)
	v_add_f64 v[18:19], v[8:9], v[10:11]
	v_add_f64 v[8:9], v[84:85], v[110:111]
	v_fma_f64 v[24:25], v[8:9], -0.5, v[20:21]
	v_add_f64 v[8:9], v[86:87], v[128:129]
	s_delay_alu instid0(VALU_DEP_1) | instskip(NEXT) | instid1(VALU_DEP_3)
	v_fma_f64 v[26:27], v[8:9], -0.5, v[22:23]
	v_fma_f64 v[8:9], v[28:29], s[12:13], v[24:25]
	v_fma_f64 v[24:25], v[28:29], s[10:11], v[24:25]
	s_delay_alu instid0(VALU_DEP_3) | instskip(NEXT) | instid1(VALU_DEP_3)
	v_fma_f64 v[10:11], v[42:43], s[10:11], v[26:27]
	v_fma_f64 v[8:9], v[30:31], s[0:1], v[8:9]
	s_delay_alu instid0(VALU_DEP_3) | instskip(SKIP_1) | instid1(VALU_DEP_4)
	v_fma_f64 v[24:25], v[30:31], s[2:3], v[24:25]
	v_fma_f64 v[26:27], v[42:43], s[12:13], v[26:27]
	;; [unrolled: 1-line block ×3, first 2 shown]
	s_delay_alu instid0(VALU_DEP_4) | instskip(NEXT) | instid1(VALU_DEP_4)
	v_fma_f64 v[8:9], v[16:17], s[14:15], v[8:9]
	v_fma_f64 v[16:17], v[16:17], s[14:15], v[24:25]
	v_add_f64 v[24:25], v[90:91], v[94:95]
	v_fma_f64 v[26:27], v[46:47], s[0:1], v[26:27]
	v_fma_f64 v[10:11], v[18:19], s[14:15], v[10:11]
	s_delay_alu instid0(VALU_DEP_3) | instskip(SKIP_4) | instid1(VALU_DEP_4)
	v_fma_f64 v[130:131], v[24:25], -0.5, v[20:21]
	v_add_f64 v[24:25], v[92:93], v[108:109]
	v_add_f64 v[20:21], v[20:21], v[84:85]
	v_fma_f64 v[18:19], v[18:19], s[14:15], v[26:27]
	v_add_f64 v[84:85], v[84:85], -v[90:91]
	v_fma_f64 v[132:133], v[24:25], -0.5, v[22:23]
	v_add_f64 v[22:23], v[22:23], v[86:87]
	v_add_f64 v[20:21], v[20:21], v[90:91]
	v_add_f64 v[86:87], v[86:87], -v[92:93]
	v_add_f64 v[90:91], v[110:111], -v[94:95]
	s_delay_alu instid0(VALU_DEP_4) | instskip(NEXT) | instid1(VALU_DEP_4)
	v_add_f64 v[22:23], v[22:23], v[92:93]
	v_add_f64 v[20:21], v[20:21], v[94:95]
	v_fma_f64 v[92:93], v[46:47], s[12:13], v[132:133]
	v_fma_f64 v[46:47], v[46:47], s[10:11], v[132:133]
	v_add_f64 v[84:85], v[84:85], v[90:91]
	v_add_f64 v[22:23], v[22:23], v[108:109]
	;; [unrolled: 1-line block ×3, first 2 shown]
	v_add_f64 v[20:21], v[128:129], -v[108:109]
	s_delay_alu instid0(VALU_DEP_3) | instskip(SKIP_2) | instid1(VALU_DEP_4)
	v_add_f64 v[26:27], v[22:23], v[128:129]
	v_fma_f64 v[22:23], v[30:31], s[10:11], v[130:131]
	v_fma_f64 v[30:31], v[30:31], s[12:13], v[130:131]
	v_add_f64 v[86:87], v[86:87], v[20:21]
	s_delay_alu instid0(VALU_DEP_3) | instskip(NEXT) | instid1(VALU_DEP_3)
	v_fma_f64 v[20:21], v[28:29], s[0:1], v[22:23]
	v_fma_f64 v[22:23], v[28:29], s[2:3], v[30:31]
	;; [unrolled: 1-line block ×4, first 2 shown]
	v_add_f64 v[46:47], v[70:71], -v[74:75]
	v_fma_f64 v[28:29], v[84:85], s[14:15], v[20:21]
	v_fma_f64 v[20:21], v[84:85], s[14:15], v[22:23]
	;; [unrolled: 1-line block ×4, first 2 shown]
	scratch_load_b32 v42, off, off offset:392 ; 4-byte Folded Reload
	s_waitcnt vmcnt(0)
	ds_store_b128 v42, v[24:27]
	ds_store_b128 v42, v[28:31] offset:80
	ds_store_b128 v42, v[8:11] offset:160
	;; [unrolled: 1-line block ×4, first 2 shown]
	v_add_f64 v[8:9], v[72:73], -v[68:69]
	v_add_f64 v[10:11], v[76:77], -v[80:81]
	;; [unrolled: 1-line block ×7, first 2 shown]
	v_add_f64 v[16:17], v[8:9], v[10:11]
	v_add_f64 v[8:9], v[74:75], -v[70:71]
	v_add_f64 v[10:11], v[78:79], -v[82:83]
	s_delay_alu instid0(VALU_DEP_1) | instskip(SKIP_1) | instid1(VALU_DEP_1)
	v_add_f64 v[18:19], v[8:9], v[10:11]
	v_add_f64 v[8:9], v[68:69], v[80:81]
	v_fma_f64 v[20:21], v[8:9], -0.5, v[4:5]
	v_add_f64 v[8:9], v[70:71], v[82:83]
	s_delay_alu instid0(VALU_DEP_1) | instskip(NEXT) | instid1(VALU_DEP_3)
	v_fma_f64 v[22:23], v[8:9], -0.5, v[6:7]
	v_fma_f64 v[8:9], v[24:25], s[12:13], v[20:21]
	v_fma_f64 v[20:21], v[24:25], s[10:11], v[20:21]
	s_delay_alu instid0(VALU_DEP_3) | instskip(SKIP_1) | instid1(VALU_DEP_4)
	v_fma_f64 v[10:11], v[28:29], s[10:11], v[22:23]
	v_fma_f64 v[22:23], v[28:29], s[12:13], v[22:23]
	;; [unrolled: 1-line block ×3, first 2 shown]
	s_delay_alu instid0(VALU_DEP_4) | instskip(NEXT) | instid1(VALU_DEP_4)
	v_fma_f64 v[20:21], v[26:27], s[2:3], v[20:21]
	v_fma_f64 v[10:11], v[30:31], s[2:3], v[10:11]
	s_delay_alu instid0(VALU_DEP_4) | instskip(NEXT) | instid1(VALU_DEP_4)
	v_fma_f64 v[22:23], v[30:31], s[0:1], v[22:23]
	v_fma_f64 v[8:9], v[16:17], s[14:15], v[8:9]
	s_delay_alu instid0(VALU_DEP_4) | instskip(SKIP_4) | instid1(VALU_DEP_4)
	v_fma_f64 v[16:17], v[16:17], s[14:15], v[20:21]
	v_add_f64 v[20:21], v[72:73], v[76:77]
	v_fma_f64 v[10:11], v[18:19], s[14:15], v[10:11]
	v_fma_f64 v[18:19], v[18:19], s[14:15], v[22:23]
	v_add_f64 v[22:23], v[74:75], v[78:79]
	v_fma_f64 v[20:21], v[20:21], -0.5, v[4:5]
	v_add_f64 v[4:5], v[4:5], v[68:69]
	v_add_f64 v[68:69], v[80:81], -v[76:77]
	s_delay_alu instid0(VALU_DEP_4)
	v_fma_f64 v[22:23], v[22:23], -0.5, v[6:7]
	v_add_f64 v[6:7], v[6:7], v[70:71]
	v_add_f64 v[70:71], v[82:83], -v[78:79]
	v_add_f64 v[4:5], v[4:5], v[72:73]
	v_fma_f64 v[72:73], v[26:27], s[10:11], v[20:21]
	v_fma_f64 v[20:21], v[26:27], s[12:13], v[20:21]
	;; [unrolled: 1-line block ×4, first 2 shown]
	v_add_f64 v[30:31], v[42:43], v[68:69]
	v_add_f64 v[42:43], v[46:47], v[70:71]
	;; [unrolled: 1-line block ×4, first 2 shown]
	v_fma_f64 v[46:47], v[24:25], s[0:1], v[72:73]
	v_fma_f64 v[24:25], v[24:25], s[2:3], v[20:21]
	;; [unrolled: 1-line block ×4, first 2 shown]
	v_add_f64 v[6:7], v[6:7], v[78:79]
	v_add_f64 v[4:5], v[4:5], v[80:81]
	v_fma_f64 v[20:21], v[30:31], s[14:15], v[46:47]
	v_fma_f64 v[24:25], v[30:31], s[14:15], v[24:25]
	v_add_f64 v[30:31], v[58:59], -v[62:63]
	v_add_f64 v[46:47], v[56:57], -v[60:61]
	v_fma_f64 v[22:23], v[42:43], s[14:15], v[26:27]
	v_fma_f64 v[26:27], v[42:43], s[14:15], v[28:29]
	scratch_load_b32 v28, off, off offset:396 ; 4-byte Folded Reload
	v_add_f64 v[42:43], v[52:53], -v[64:65]
	v_add_f64 v[6:7], v[6:7], v[82:83]
	s_waitcnt vmcnt(0)
	ds_store_b128 v28, v[4:7]
	ds_store_b128 v28, v[20:23] offset:80
	ds_store_b128 v28, v[8:11] offset:160
	;; [unrolled: 1-line block ×4, first 2 shown]
	v_add_f64 v[4:5], v[52:53], -v[56:57]
	v_add_f64 v[6:7], v[64:65], -v[60:61]
	;; [unrolled: 1-line block ×3, first 2 shown]
	v_add_f64 v[10:11], v[58:59], v[62:63]
	v_add_f64 v[28:29], v[54:55], -v[66:67]
	s_delay_alu instid0(VALU_DEP_4) | instskip(SKIP_1) | instid1(VALU_DEP_4)
	v_add_f64 v[4:5], v[4:5], v[6:7]
	v_add_f64 v[6:7], v[54:55], -v[58:59]
	v_fma_f64 v[10:11], v[10:11], -0.5, v[2:3]
	s_delay_alu instid0(VALU_DEP_2) | instskip(SKIP_1) | instid1(VALU_DEP_3)
	v_add_f64 v[6:7], v[6:7], v[8:9]
	v_add_f64 v[8:9], v[56:57], v[60:61]
	v_fma_f64 v[18:19], v[42:43], s[12:13], v[10:11]
	v_fma_f64 v[10:11], v[42:43], s[10:11], v[10:11]
	s_delay_alu instid0(VALU_DEP_3) | instskip(NEXT) | instid1(VALU_DEP_3)
	v_fma_f64 v[8:9], v[8:9], -0.5, v[0:1]
	v_fma_f64 v[18:19], v[46:47], s[2:3], v[18:19]
	s_delay_alu instid0(VALU_DEP_3) | instskip(NEXT) | instid1(VALU_DEP_3)
	v_fma_f64 v[10:11], v[46:47], s[0:1], v[10:11]
	v_fma_f64 v[16:17], v[28:29], s[10:11], v[8:9]
	;; [unrolled: 1-line block ×3, first 2 shown]
	s_delay_alu instid0(VALU_DEP_4) | instskip(NEXT) | instid1(VALU_DEP_4)
	v_fma_f64 v[18:19], v[6:7], s[14:15], v[18:19]
	v_fma_f64 v[22:23], v[6:7], s[14:15], v[10:11]
	v_add_f64 v[6:7], v[54:55], v[66:67]
	v_add_f64 v[10:11], v[58:59], -v[54:55]
	v_fma_f64 v[16:17], v[30:31], s[0:1], v[16:17]
	v_fma_f64 v[8:9], v[30:31], s[2:3], v[8:9]
	s_delay_alu instid0(VALU_DEP_4) | instskip(SKIP_1) | instid1(VALU_DEP_4)
	v_fma_f64 v[6:7], v[6:7], -0.5, v[2:3]
	v_add_f64 v[2:3], v[2:3], v[54:55]
	v_fma_f64 v[16:17], v[4:5], s[14:15], v[16:17]
	s_delay_alu instid0(VALU_DEP_4) | instskip(SKIP_4) | instid1(VALU_DEP_4)
	v_fma_f64 v[20:21], v[4:5], s[14:15], v[8:9]
	v_add_f64 v[4:5], v[52:53], v[64:65]
	v_add_f64 v[8:9], v[56:57], -v[52:53]
	v_add_f64 v[2:3], v[2:3], v[58:59]
	v_add_f64 v[58:59], v[48:49], -v[50:51]
	v_fma_f64 v[4:5], v[4:5], -0.5, v[0:1]
	v_add_f64 v[0:1], v[0:1], v[52:53]
	v_add_f64 v[52:53], v[60:61], -v[64:65]
	v_add_f64 v[2:3], v[2:3], v[62:63]
	s_delay_alu instid0(VALU_DEP_3) | instskip(NEXT) | instid1(VALU_DEP_3)
	v_add_f64 v[0:1], v[0:1], v[56:57]
	v_add_f64 v[8:9], v[8:9], v[52:53]
	s_delay_alu instid0(VALU_DEP_3)
	v_add_f64 v[26:27], v[2:3], v[66:67]
	v_fma_f64 v[2:3], v[30:31], s[12:13], v[4:5]
	v_fma_f64 v[4:5], v[30:31], s[10:11], v[4:5]
	;; [unrolled: 1-line block ×4, first 2 shown]
	v_add_f64 v[56:57], v[34:35], -v[44:45]
	v_add_f64 v[46:47], v[36:37], -v[38:39]
	v_add_f64 v[0:1], v[0:1], v[60:61]
	v_fma_f64 v[2:3], v[28:29], s[0:1], v[2:3]
	v_fma_f64 v[4:5], v[28:29], s[2:3], v[4:5]
	;; [unrolled: 1-line block ×3, first 2 shown]
	s_delay_alu instid0(VALU_DEP_4)
	v_add_f64 v[24:25], v[0:1], v[64:65]
	v_add_f64 v[0:1], v[62:63], -v[66:67]
	v_fma_f64 v[28:29], v[8:9], s[14:15], v[2:3]
	v_add_f64 v[2:3], v[44:45], -v[50:51]
	v_fma_f64 v[52:53], v[8:9], s[14:15], v[4:5]
	v_add_f64 v[4:5], v[40:41], -v[38:39]
	v_add_f64 v[0:1], v[10:11], v[0:1]
	v_fma_f64 v[10:11], v[42:43], s[2:3], v[30:31]
	v_add_f64 v[42:43], v[32:33], -v[40:41]
	s_delay_alu instid0(VALU_DEP_3) | instskip(NEXT) | instid1(VALU_DEP_3)
	v_fma_f64 v[54:55], v[0:1], s[14:15], v[6:7]
	v_fma_f64 v[30:31], v[0:1], s[14:15], v[10:11]
	v_add_f64 v[0:1], v[34:35], -v[48:49]
	v_add_f64 v[6:7], v[36:37], v[38:39]
	s_delay_alu instid0(VALU_DEP_2) | instskip(SKIP_1) | instid1(VALU_DEP_3)
	v_add_f64 v[0:1], v[0:1], v[2:3]
	v_add_f64 v[2:3], v[32:33], -v[36:37]
	v_fma_f64 v[10:11], v[6:7], -0.5, v[14:15]
	s_delay_alu instid0(VALU_DEP_2) | instskip(SKIP_1) | instid1(VALU_DEP_3)
	v_add_f64 v[2:3], v[2:3], v[4:5]
	v_add_f64 v[4:5], v[48:49], v[50:51]
	v_fma_f64 v[6:7], v[56:57], s[12:13], v[10:11]
	v_fma_f64 v[10:11], v[56:57], s[10:11], v[10:11]
	s_delay_alu instid0(VALU_DEP_3) | instskip(NEXT) | instid1(VALU_DEP_3)
	v_fma_f64 v[8:9], v[4:5], -0.5, v[12:13]
	v_fma_f64 v[6:7], v[58:59], s[2:3], v[6:7]
	s_delay_alu instid0(VALU_DEP_3) | instskip(NEXT) | instid1(VALU_DEP_3)
	v_fma_f64 v[10:11], v[58:59], s[0:1], v[10:11]
	v_fma_f64 v[4:5], v[42:43], s[10:11], v[8:9]
	;; [unrolled: 1-line block ×3, first 2 shown]
	s_delay_alu instid0(VALU_DEP_4) | instskip(NEXT) | instid1(VALU_DEP_4)
	v_fma_f64 v[6:7], v[2:3], s[14:15], v[6:7]
	v_fma_f64 v[10:11], v[2:3], s[14:15], v[10:11]
	v_add_f64 v[2:3], v[32:33], v[40:41]
	v_fma_f64 v[4:5], v[46:47], s[0:1], v[4:5]
	v_fma_f64 v[8:9], v[46:47], s[2:3], v[8:9]
	s_delay_alu instid0(VALU_DEP_3) | instskip(SKIP_1) | instid1(VALU_DEP_4)
	v_fma_f64 v[60:61], v[2:3], -0.5, v[14:15]
	v_add_f64 v[2:3], v[12:13], v[34:35]
	v_fma_f64 v[4:5], v[0:1], s[14:15], v[4:5]
	s_delay_alu instid0(VALU_DEP_4) | instskip(SKIP_1) | instid1(VALU_DEP_4)
	v_fma_f64 v[8:9], v[0:1], s[14:15], v[8:9]
	v_add_f64 v[0:1], v[34:35], v[44:45]
	v_add_f64 v[2:3], v[2:3], v[48:49]
	s_delay_alu instid0(VALU_DEP_2) | instskip(SKIP_2) | instid1(VALU_DEP_4)
	v_fma_f64 v[0:1], v[0:1], -0.5, v[12:13]
	v_add_f64 v[12:13], v[14:15], v[32:33]
	v_add_f64 v[14:15], v[48:49], -v[34:35]
	v_add_f64 v[2:3], v[2:3], v[50:51]
	v_add_f64 v[48:49], v[50:51], -v[44:45]
	v_fma_f64 v[34:35], v[46:47], s[12:13], v[0:1]
	v_fma_f64 v[46:47], v[46:47], s[10:11], v[0:1]
	v_add_f64 v[0:1], v[12:13], v[36:37]
	s_delay_alu instid0(VALU_DEP_1) | instskip(SKIP_1) | instid1(VALU_DEP_2)
	v_add_f64 v[12:13], v[0:1], v[38:39]
	v_add_f64 v[0:1], v[2:3], v[44:45]
	;; [unrolled: 1-line block ×3, first 2 shown]
	v_add_f64 v[12:13], v[36:37], -v[32:33]
	v_add_f64 v[32:33], v[38:39], -v[40:41]
	v_fma_f64 v[36:37], v[58:59], s[10:11], v[60:61]
	v_fma_f64 v[38:39], v[58:59], s[12:13], v[60:61]
	v_add_f64 v[40:41], v[14:15], v[48:49]
	v_fma_f64 v[14:15], v[42:43], s[0:1], v[34:35]
	v_fma_f64 v[34:35], v[42:43], s[2:3], v[46:47]
	v_add_f64 v[32:33], v[12:13], v[32:33]
	v_fma_f64 v[36:37], v[56:57], s[2:3], v[36:37]
	v_fma_f64 v[38:39], v[56:57], s[0:1], v[38:39]
	;; [unrolled: 1-line block ×4, first 2 shown]
	s_delay_alu instid0(VALU_DEP_4) | instskip(NEXT) | instid1(VALU_DEP_4)
	v_fma_f64 v[14:15], v[32:33], s[14:15], v[36:37]
	v_fma_f64 v[110:111], v[32:33], s[14:15], v[38:39]
	scratch_load_b32 v32, off, off offset:388 ; 4-byte Folded Reload
	s_waitcnt vmcnt(0)
	ds_store_b128 v32, v[24:27]
	ds_store_b128 v32, v[16:19] offset:80
	ds_store_b128 v32, v[28:31] offset:160
	;; [unrolled: 1-line block ×4, first 2 shown]
	s_and_saveexec_b32 s0, vcc_lo
	s_cbranch_execz .LBB0_25
; %bb.24:
	scratch_load_b32 v16, off, off offset:384 ; 4-byte Folded Reload
	s_waitcnt vmcnt(0)
	v_and_b32_e32 v16, 0xffff, v16
	s_delay_alu instid0(VALU_DEP_1)
	v_lshlrev_b32_e32 v16, 4, v16
	ds_store_b128 v16, v[0:3]
	ds_store_b128 v16, v[4:7] offset:80
	ds_store_b128 v16, v[12:15] offset:160
	;; [unrolled: 1-line block ×4, first 2 shown]
.LBB0_25:
	s_or_b32 exec_lo, exec_lo, s0
	s_waitcnt lgkmcnt(0)
	s_barrier
	buffer_gl0_inv
	ds_load_b128 v[24:27], v88
	ds_load_b128 v[20:23], v88 offset:2000
	ds_load_b128 v[64:67], v88 offset:12800
	;; [unrolled: 1-line block ×14, first 2 shown]
	s_and_saveexec_b32 s0, vcc_lo
	s_cbranch_execz .LBB0_27
; %bb.26:
	ds_load_b128 v[0:3], v88 offset:6000
	ds_load_b128 v[4:7], v88 offset:12400
	;; [unrolled: 1-line block ×5, first 2 shown]
.LBB0_27:
	s_or_b32 exec_lo, exec_lo, s0
	scratch_load_b128 v[78:81], off, off offset:328 ; 16-byte Folded Reload
	s_mov_b32 s12, s10
	s_mov_b32 s0, 0x4755a5e
	;; [unrolled: 1-line block ×4, first 2 shown]
	scratch_load_b128 v[82:85], off, off offset:344 ; 16-byte Folded Reload
	s_waitcnt vmcnt(1) lgkmcnt(8)
	v_mul_f64 v[76:77], v[80:81], v[74:75]
	s_delay_alu instid0(VALU_DEP_1) | instskip(SKIP_1) | instid1(VALU_DEP_1)
	v_fma_f64 v[76:77], v[78:79], v[72:73], v[76:77]
	v_mul_f64 v[72:73], v[80:81], v[72:73]
	v_fma_f64 v[72:73], v[78:79], v[74:75], -v[72:73]
	scratch_load_b128 v[78:81], off, off offset:312 ; 16-byte Folded Reload
	s_waitcnt vmcnt(0)
	v_mul_f64 v[74:75], v[80:81], v[66:67]
	s_delay_alu instid0(VALU_DEP_1) | instskip(SKIP_1) | instid1(VALU_DEP_1)
	v_fma_f64 v[74:75], v[78:79], v[64:65], v[74:75]
	v_mul_f64 v[64:65], v[80:81], v[64:65]
	v_fma_f64 v[78:79], v[78:79], v[66:67], -v[64:65]
	v_mul_f64 v[64:65], v[84:85], v[62:63]
	s_delay_alu instid0(VALU_DEP_1) | instskip(SKIP_1) | instid1(VALU_DEP_1)
	v_fma_f64 v[80:81], v[82:83], v[60:61], v[64:65]
	v_mul_f64 v[60:61], v[84:85], v[60:61]
	v_fma_f64 v[82:83], v[82:83], v[62:63], -v[60:61]
	scratch_load_b128 v[62:65], off, off offset:292 ; 16-byte Folded Reload
	v_add_f64 v[92:93], v[72:73], -v[82:83]
	s_waitcnt vmcnt(0) lgkmcnt(4)
	v_mul_f64 v[60:61], v[64:65], v[70:71]
	s_delay_alu instid0(VALU_DEP_1) | instskip(SKIP_1) | instid1(VALU_DEP_2)
	v_fma_f64 v[84:85], v[62:63], v[68:69], v[60:61]
	v_mul_f64 v[60:61], v[64:65], v[68:69]
	v_add_f64 v[94:95], v[74:75], -v[84:85]
	s_delay_alu instid0(VALU_DEP_2)
	v_fma_f64 v[86:87], v[62:63], v[70:71], -v[60:61]
	scratch_load_b128 v[62:65], off, off offset:360 ; 16-byte Folded Reload
	v_mul_f64 v[60:61], v[98:99], v[58:59]
	s_waitcnt vmcnt(0) lgkmcnt(0)
	s_barrier
	buffer_gl0_inv
	v_add_f64 v[90:91], v[78:79], -v[86:87]
	v_fma_f64 v[60:61], v[96:97], v[56:57], v[60:61]
	v_mul_f64 v[56:57], v[98:99], v[56:57]
	s_delay_alu instid0(VALU_DEP_1) | instskip(SKIP_2) | instid1(VALU_DEP_1)
	v_fma_f64 v[56:57], v[96:97], v[58:59], -v[56:57]
	v_add_f64 v[96:97], v[76:77], -v[80:81]
	v_mul_f64 v[58:59], v[64:65], v[50:51]
	v_fma_f64 v[58:59], v[62:63], v[48:49], v[58:59]
	v_mul_f64 v[48:49], v[64:65], v[48:49]
	v_add_f64 v[64:65], v[86:87], -v[82:83]
	s_delay_alu instid0(VALU_DEP_2) | instskip(SKIP_1) | instid1(VALU_DEP_1)
	v_fma_f64 v[62:63], v[62:63], v[50:51], -v[48:49]
	v_mul_f64 v[48:49], v[102:103], v[54:55]
	v_fma_f64 v[50:51], v[100:101], v[52:53], v[48:49]
	v_mul_f64 v[48:49], v[102:103], v[52:53]
	v_mul_f64 v[52:53], v[106:107], v[46:47]
	s_delay_alu instid0(VALU_DEP_2) | instskip(NEXT) | instid1(VALU_DEP_2)
	v_fma_f64 v[48:49], v[100:101], v[54:55], -v[48:49]
	v_fma_f64 v[52:53], v[104:105], v[44:45], v[52:53]
	v_mul_f64 v[44:45], v[106:107], v[44:45]
	v_add_f64 v[54:55], v[84:85], -v[80:81]
	s_delay_alu instid0(VALU_DEP_2) | instskip(SKIP_1) | instid1(VALU_DEP_1)
	v_fma_f64 v[46:47], v[104:105], v[46:47], -v[44:45]
	v_mul_f64 v[44:45], v[118:119], v[42:43]
	v_fma_f64 v[44:45], v[116:117], v[40:41], v[44:45]
	v_mul_f64 v[40:41], v[118:119], v[40:41]
	s_delay_alu instid0(VALU_DEP_1) | instskip(SKIP_1) | instid1(VALU_DEP_1)
	v_fma_f64 v[40:41], v[116:117], v[42:43], -v[40:41]
	v_mul_f64 v[42:43], v[114:115], v[38:39]
	v_fma_f64 v[42:43], v[112:113], v[36:37], v[42:43]
	v_mul_f64 v[36:37], v[114:115], v[36:37]
	s_delay_alu instid0(VALU_DEP_1) | instskip(SKIP_1) | instid1(VALU_DEP_1)
	;; [unrolled: 5-line block ×4, first 2 shown]
	v_fma_f64 v[28:29], v[124:125], v[30:31], -v[28:29]
	v_add_f64 v[30:31], v[74:75], -v[76:77]
	v_add_f64 v[30:31], v[30:31], v[54:55]
	v_add_f64 v[54:55], v[78:79], -v[72:73]
	s_delay_alu instid0(VALU_DEP_1) | instskip(SKIP_1) | instid1(VALU_DEP_1)
	v_add_f64 v[54:55], v[54:55], v[64:65]
	v_add_f64 v[64:65], v[76:77], v[80:81]
	v_fma_f64 v[68:69], v[64:65], -0.5, v[24:25]
	v_add_f64 v[64:65], v[72:73], v[82:83]
	s_delay_alu instid0(VALU_DEP_1) | instskip(NEXT) | instid1(VALU_DEP_3)
	v_fma_f64 v[70:71], v[64:65], -0.5, v[26:27]
	v_fma_f64 v[64:65], v[90:91], s[12:13], v[68:69]
	v_fma_f64 v[68:69], v[90:91], s[10:11], v[68:69]
	s_delay_alu instid0(VALU_DEP_3) | instskip(NEXT) | instid1(VALU_DEP_3)
	v_fma_f64 v[66:67], v[94:95], s[10:11], v[70:71]
	v_fma_f64 v[64:65], v[92:93], s[0:1], v[64:65]
	s_delay_alu instid0(VALU_DEP_3) | instskip(SKIP_1) | instid1(VALU_DEP_4)
	v_fma_f64 v[68:69], v[92:93], s[2:3], v[68:69]
	v_fma_f64 v[70:71], v[94:95], s[12:13], v[70:71]
	v_fma_f64 v[66:67], v[96:97], s[2:3], v[66:67]
	s_delay_alu instid0(VALU_DEP_4) | instskip(NEXT) | instid1(VALU_DEP_4)
	v_fma_f64 v[64:65], v[30:31], s[14:15], v[64:65]
	v_fma_f64 v[68:69], v[30:31], s[14:15], v[68:69]
	v_add_f64 v[30:31], v[74:75], v[84:85]
	v_fma_f64 v[70:71], v[96:97], s[0:1], v[70:71]
	v_fma_f64 v[66:67], v[54:55], s[14:15], v[66:67]
	s_delay_alu instid0(VALU_DEP_3) | instskip(SKIP_1) | instid1(VALU_DEP_4)
	v_fma_f64 v[30:31], v[30:31], -0.5, v[24:25]
	v_add_f64 v[24:25], v[24:25], v[76:77]
	v_fma_f64 v[70:71], v[54:55], s[14:15], v[70:71]
	v_add_f64 v[54:55], v[78:79], v[86:87]
	v_add_f64 v[76:77], v[76:77], -v[74:75]
	s_delay_alu instid0(VALU_DEP_4) | instskip(SKIP_1) | instid1(VALU_DEP_4)
	v_add_f64 v[24:25], v[24:25], v[74:75]
	v_add_f64 v[74:75], v[80:81], -v[84:85]
	v_fma_f64 v[54:55], v[54:55], -0.5, v[26:27]
	v_add_f64 v[26:27], v[26:27], v[72:73]
	v_add_f64 v[72:73], v[72:73], -v[78:79]
	v_add_f64 v[24:25], v[24:25], v[84:85]
	v_add_f64 v[76:77], v[76:77], v[74:75]
	s_delay_alu instid0(VALU_DEP_4) | instskip(SKIP_1) | instid1(VALU_DEP_4)
	v_add_f64 v[26:27], v[26:27], v[78:79]
	v_add_f64 v[78:79], v[82:83], -v[86:87]
	v_add_f64 v[24:25], v[24:25], v[80:81]
	v_fma_f64 v[80:81], v[92:93], s[10:11], v[30:31]
	v_fma_f64 v[30:31], v[92:93], s[12:13], v[30:31]
	v_add_f64 v[26:27], v[26:27], v[86:87]
	v_add_f64 v[78:79], v[72:73], v[78:79]
	s_delay_alu instid0(VALU_DEP_4) | instskip(NEXT) | instid1(VALU_DEP_4)
	v_fma_f64 v[72:73], v[90:91], s[0:1], v[80:81]
	v_fma_f64 v[30:31], v[90:91], s[2:3], v[30:31]
	s_delay_alu instid0(VALU_DEP_4)
	v_add_f64 v[26:27], v[26:27], v[82:83]
	v_fma_f64 v[82:83], v[96:97], s[12:13], v[54:55]
	v_fma_f64 v[54:55], v[96:97], s[10:11], v[54:55]
	;; [unrolled: 1-line block ×4, first 2 shown]
	scratch_load_b32 v30, off, off offset:404 ; 4-byte Folded Reload
	v_fma_f64 v[74:75], v[94:95], s[2:3], v[82:83]
	v_fma_f64 v[54:55], v[94:95], s[0:1], v[54:55]
	s_delay_alu instid0(VALU_DEP_2) | instskip(NEXT) | instid1(VALU_DEP_2)
	v_fma_f64 v[74:75], v[78:79], s[14:15], v[74:75]
	v_fma_f64 v[78:79], v[78:79], s[14:15], v[54:55]
	s_waitcnt vmcnt(0)
	ds_store_b128 v30, v[24:27]
	ds_store_b128 v30, v[72:75] offset:400
	ds_store_b128 v30, v[64:67] offset:800
	;; [unrolled: 1-line block ×4, first 2 shown]
	v_add_f64 v[24:25], v[60:61], -v[58:59]
	v_add_f64 v[26:27], v[52:53], -v[50:51]
	;; [unrolled: 1-line block ×6, first 2 shown]
	v_add_f64 v[30:31], v[24:25], v[26:27]
	v_add_f64 v[24:25], v[56:57], -v[62:63]
	v_add_f64 v[26:27], v[46:47], -v[48:49]
	s_delay_alu instid0(VALU_DEP_1) | instskip(SKIP_1) | instid1(VALU_DEP_1)
	v_add_f64 v[54:55], v[24:25], v[26:27]
	v_add_f64 v[24:25], v[58:59], v[50:51]
	v_fma_f64 v[64:65], v[24:25], -0.5, v[20:21]
	v_add_f64 v[24:25], v[62:63], v[48:49]
	s_delay_alu instid0(VALU_DEP_1) | instskip(NEXT) | instid1(VALU_DEP_3)
	v_fma_f64 v[66:67], v[24:25], -0.5, v[22:23]
	v_fma_f64 v[24:25], v[68:69], s[10:11], v[64:65]
	v_fma_f64 v[64:65], v[68:69], s[12:13], v[64:65]
	s_delay_alu instid0(VALU_DEP_3) | instskip(SKIP_1) | instid1(VALU_DEP_4)
	v_fma_f64 v[26:27], v[72:73], s[12:13], v[66:67]
	v_fma_f64 v[66:67], v[72:73], s[10:11], v[66:67]
	;; [unrolled: 1-line block ×3, first 2 shown]
	s_delay_alu instid0(VALU_DEP_4) | instskip(NEXT) | instid1(VALU_DEP_4)
	v_fma_f64 v[64:65], v[70:71], s[2:3], v[64:65]
	v_fma_f64 v[26:27], v[74:75], s[2:3], v[26:27]
	s_delay_alu instid0(VALU_DEP_4) | instskip(NEXT) | instid1(VALU_DEP_4)
	v_fma_f64 v[66:67], v[74:75], s[0:1], v[66:67]
	v_fma_f64 v[24:25], v[30:31], s[14:15], v[24:25]
	s_delay_alu instid0(VALU_DEP_4) | instskip(SKIP_4) | instid1(VALU_DEP_4)
	v_fma_f64 v[64:65], v[30:31], s[14:15], v[64:65]
	v_add_f64 v[30:31], v[60:61], v[52:53]
	v_fma_f64 v[26:27], v[54:55], s[14:15], v[26:27]
	v_fma_f64 v[66:67], v[54:55], s[14:15], v[66:67]
	v_add_f64 v[54:55], v[56:57], v[46:47]
	v_fma_f64 v[30:31], v[30:31], -0.5, v[20:21]
	v_add_f64 v[20:21], v[20:21], v[60:61]
	v_add_f64 v[60:61], v[58:59], -v[60:61]
	s_delay_alu instid0(VALU_DEP_4) | instskip(SKIP_3) | instid1(VALU_DEP_3)
	v_fma_f64 v[54:55], v[54:55], -0.5, v[22:23]
	v_add_f64 v[22:23], v[22:23], v[56:57]
	v_add_f64 v[56:57], v[62:63], -v[56:57]
	v_add_f64 v[20:21], v[20:21], v[58:59]
	v_add_f64 v[22:23], v[22:23], v[62:63]
	s_delay_alu instid0(VALU_DEP_2) | instskip(SKIP_1) | instid1(VALU_DEP_3)
	v_add_f64 v[20:21], v[20:21], v[50:51]
	v_add_f64 v[50:51], v[50:51], -v[52:53]
	v_add_f64 v[22:23], v[22:23], v[48:49]
	s_delay_alu instid0(VALU_DEP_3)
	v_add_f64 v[20:21], v[20:21], v[52:53]
	v_fma_f64 v[52:53], v[74:75], s[10:11], v[54:55]
	v_fma_f64 v[54:55], v[74:75], s[12:13], v[54:55]
	v_add_f64 v[50:51], v[60:61], v[50:51]
	v_add_f64 v[74:75], v[44:45], -v[34:35]
	v_add_f64 v[22:23], v[22:23], v[46:47]
	v_add_f64 v[46:47], v[48:49], -v[46:47]
	v_fma_f64 v[48:49], v[70:71], s[12:13], v[30:31]
	v_fma_f64 v[30:31], v[70:71], s[10:11], v[30:31]
	v_add_f64 v[70:71], v[40:41], -v[28:29]
	s_delay_alu instid0(VALU_DEP_4) | instskip(NEXT) | instid1(VALU_DEP_4)
	v_add_f64 v[56:57], v[56:57], v[46:47]
	v_fma_f64 v[46:47], v[68:69], s[0:1], v[48:49]
	s_delay_alu instid0(VALU_DEP_4)
	v_fma_f64 v[30:31], v[68:69], s[2:3], v[30:31]
	v_fma_f64 v[48:49], v[72:73], s[2:3], v[52:53]
	;; [unrolled: 1-line block ×3, first 2 shown]
	v_add_f64 v[54:55], v[36:37], -v[34:35]
	v_add_f64 v[72:73], v[42:43], -v[36:37]
	;; [unrolled: 1-line block ×3, first 2 shown]
	v_fma_f64 v[46:47], v[50:51], s[14:15], v[46:47]
	v_fma_f64 v[50:51], v[50:51], s[14:15], v[30:31]
	v_add_f64 v[30:31], v[42:43], -v[44:45]
	v_fma_f64 v[48:49], v[56:57], s[14:15], v[48:49]
	v_fma_f64 v[52:53], v[56:57], s[14:15], v[52:53]
	v_add_f64 v[56:57], v[32:33], -v[28:29]
	s_delay_alu instid0(VALU_DEP_4) | instskip(SKIP_1) | instid1(VALU_DEP_1)
	v_add_f64 v[30:31], v[30:31], v[54:55]
	v_add_f64 v[54:55], v[38:39], -v[40:41]
	v_add_f64 v[60:61], v[54:55], v[56:57]
	v_add_f64 v[54:55], v[44:45], v[34:35]
	s_delay_alu instid0(VALU_DEP_1) | instskip(SKIP_1) | instid1(VALU_DEP_1)
	v_fma_f64 v[58:59], v[54:55], -0.5, v[16:17]
	v_add_f64 v[54:55], v[40:41], v[28:29]
	v_fma_f64 v[62:63], v[54:55], -0.5, v[18:19]
	s_delay_alu instid0(VALU_DEP_3) | instskip(SKIP_1) | instid1(VALU_DEP_3)
	v_fma_f64 v[54:55], v[68:69], s[12:13], v[58:59]
	v_fma_f64 v[58:59], v[68:69], s[10:11], v[58:59]
	;; [unrolled: 1-line block ×4, first 2 shown]
	s_delay_alu instid0(VALU_DEP_4) | instskip(NEXT) | instid1(VALU_DEP_4)
	v_fma_f64 v[54:55], v[70:71], s[0:1], v[54:55]
	v_fma_f64 v[58:59], v[70:71], s[2:3], v[58:59]
	s_delay_alu instid0(VALU_DEP_4) | instskip(NEXT) | instid1(VALU_DEP_4)
	v_fma_f64 v[56:57], v[74:75], s[2:3], v[56:57]
	v_fma_f64 v[62:63], v[74:75], s[0:1], v[62:63]
	;; [unrolled: 3-line block ×3, first 2 shown]
	v_add_f64 v[30:31], v[42:43], v[36:37]
	v_fma_f64 v[56:57], v[60:61], s[14:15], v[56:57]
	v_fma_f64 v[60:61], v[60:61], s[14:15], v[62:63]
	v_add_f64 v[62:63], v[38:39], v[32:33]
	s_delay_alu instid0(VALU_DEP_4) | instskip(SKIP_2) | instid1(VALU_DEP_4)
	v_fma_f64 v[30:31], v[30:31], -0.5, v[16:17]
	v_add_f64 v[16:17], v[16:17], v[44:45]
	v_add_f64 v[44:45], v[44:45], -v[42:43]
	v_fma_f64 v[62:63], v[62:63], -0.5, v[18:19]
	v_add_f64 v[18:19], v[18:19], v[40:41]
	s_delay_alu instid0(VALU_DEP_4) | instskip(NEXT) | instid1(VALU_DEP_2)
	v_add_f64 v[16:17], v[16:17], v[42:43]
	v_add_f64 v[18:19], v[18:19], v[38:39]
	v_add_f64 v[38:39], v[40:41], -v[38:39]
	s_delay_alu instid0(VALU_DEP_3) | instskip(SKIP_3) | instid1(VALU_DEP_4)
	v_add_f64 v[16:17], v[16:17], v[36:37]
	v_add_f64 v[36:37], v[34:35], -v[36:37]
	v_fma_f64 v[40:41], v[74:75], s[10:11], v[62:63]
	v_add_f64 v[18:19], v[18:19], v[32:33]
	v_add_f64 v[16:17], v[16:17], v[34:35]
	s_delay_alu instid0(VALU_DEP_4) | instskip(SKIP_1) | instid1(VALU_DEP_4)
	v_add_f64 v[36:37], v[44:45], v[36:37]
	v_fma_f64 v[34:35], v[74:75], s[12:13], v[62:63]
	v_add_f64 v[18:19], v[18:19], v[28:29]
	v_add_f64 v[28:29], v[28:29], -v[32:33]
	v_fma_f64 v[32:33], v[70:71], s[10:11], v[30:31]
	v_fma_f64 v[30:31], v[70:71], s[12:13], v[30:31]
	s_delay_alu instid0(VALU_DEP_3) | instskip(NEXT) | instid1(VALU_DEP_3)
	v_add_f64 v[38:39], v[38:39], v[28:29]
	v_fma_f64 v[28:29], v[68:69], s[0:1], v[32:33]
	s_delay_alu instid0(VALU_DEP_3) | instskip(SKIP_2) | instid1(VALU_DEP_4)
	v_fma_f64 v[32:33], v[68:69], s[2:3], v[30:31]
	v_fma_f64 v[30:31], v[72:73], s[2:3], v[34:35]
	;; [unrolled: 1-line block ×4, first 2 shown]
	s_delay_alu instid0(VALU_DEP_4)
	v_fma_f64 v[32:33], v[36:37], s[14:15], v[32:33]
	scratch_load_b32 v36, off, off offset:408 ; 4-byte Folded Reload
	v_fma_f64 v[30:31], v[38:39], s[14:15], v[30:31]
	v_fma_f64 v[34:35], v[38:39], s[14:15], v[34:35]
	s_waitcnt vmcnt(0)
	ds_store_b128 v36, v[20:23]
	ds_store_b128 v36, v[24:27] offset:400
	ds_store_b128 v36, v[46:49] offset:800
	;; [unrolled: 1-line block ×4, first 2 shown]
	ds_store_b128 v89, v[16:19]
	ds_store_b128 v89, v[28:31] offset:400
	ds_store_b128 v89, v[54:57] offset:800
	;; [unrolled: 1-line block ×4, first 2 shown]
	s_and_saveexec_b32 s16, vcc_lo
	s_cbranch_execz .LBB0_29
; %bb.28:
	s_clause 0x3
	scratch_load_b128 v[36:39], off, off offset:428
	scratch_load_b128 v[32:35], off, off offset:412
	;; [unrolled: 1-line block ×4, first 2 shown]
	s_waitcnt vmcnt(3)
	v_mul_f64 v[16:17], v[38:39], v[12:13]
	s_waitcnt vmcnt(2)
	v_mul_f64 v[18:19], v[34:35], v[4:5]
	;; [unrolled: 2-line block ×4, first 2 shown]
	v_mul_f64 v[24:25], v[38:39], v[14:15]
	v_mul_f64 v[26:27], v[42:43], v[110:111]
	;; [unrolled: 1-line block ×4, first 2 shown]
	v_fma_f64 v[14:15], v[36:37], v[14:15], -v[16:17]
	v_fma_f64 v[6:7], v[32:33], v[6:7], -v[18:19]
	;; [unrolled: 1-line block ×4, first 2 shown]
	v_fma_f64 v[12:13], v[36:37], v[12:13], v[24:25]
	v_fma_f64 v[18:19], v[40:41], v[108:109], v[26:27]
	;; [unrolled: 1-line block ×4, first 2 shown]
	v_add_f64 v[32:33], v[2:3], v[6:7]
	v_add_f64 v[20:21], v[6:7], v[10:11]
	;; [unrolled: 1-line block ×3, first 2 shown]
	v_add_f64 v[36:37], v[6:7], -v[10:11]
	v_add_f64 v[24:25], v[12:13], v[18:19]
	v_add_f64 v[28:29], v[12:13], -v[18:19]
	v_add_f64 v[26:27], v[4:5], v[8:9]
	;; [unrolled: 2-line block ×3, first 2 shown]
	v_add_f64 v[38:39], v[16:17], -v[10:11]
	v_add_f64 v[40:41], v[10:11], -v[16:17]
	;; [unrolled: 1-line block ×6, first 2 shown]
	v_fma_f64 v[20:21], v[20:21], -0.5, v[2:3]
	v_fma_f64 v[2:3], v[22:23], -0.5, v[2:3]
	v_add_f64 v[22:23], v[14:15], -v[16:17]
	v_fma_f64 v[24:25], v[24:25], -0.5, v[0:1]
	v_fma_f64 v[0:1], v[26:27], -0.5, v[0:1]
	v_add_f64 v[26:27], v[14:15], -v[6:7]
	v_add_f64 v[6:7], v[6:7], -v[14:15]
	v_add_f64 v[14:15], v[32:33], v[14:15]
	v_add_f64 v[12:13], v[34:35], v[12:13]
	v_fma_f64 v[32:33], v[28:29], s[12:13], v[20:21]
	v_fma_f64 v[20:21], v[28:29], s[10:11], v[20:21]
	;; [unrolled: 1-line block ×6, first 2 shown]
	v_add_f64 v[26:27], v[26:27], v[38:39]
	v_add_f64 v[38:39], v[6:7], v[40:41]
	;; [unrolled: 1-line block ×6, first 2 shown]
	v_fma_f64 v[0:1], v[22:23], s[10:11], v[0:1]
	v_fma_f64 v[24:25], v[36:37], s[12:13], v[24:25]
	v_fma_f64 v[12:13], v[30:31], s[0:1], v[32:33]
	v_fma_f64 v[14:15], v[30:31], s[2:3], v[20:21]
	v_fma_f64 v[16:17], v[28:29], s[0:1], v[34:35]
	v_fma_f64 v[20:21], v[22:23], s[0:1], v[48:49]
	v_fma_f64 v[18:19], v[28:29], s[2:3], v[2:3]
	v_fma_f64 v[28:29], v[36:37], s[0:1], v[50:51]
	v_add_f64 v[2:3], v[4:5], v[10:11]
	v_fma_f64 v[30:31], v[36:37], s[2:3], v[0:1]
	v_fma_f64 v[22:23], v[22:23], s[2:3], v[24:25]
	v_add_f64 v[0:1], v[6:7], v[8:9]
	v_fma_f64 v[6:7], v[26:27], s[14:15], v[12:13]
	v_fma_f64 v[10:11], v[26:27], s[14:15], v[14:15]
	;; [unrolled: 1-line block ×4, first 2 shown]
	scratch_load_b32 v20, off, off offset:400 ; 4-byte Folded Reload
	v_fma_f64 v[18:19], v[38:39], s[14:15], v[18:19]
	v_fma_f64 v[8:9], v[40:41], s[14:15], v[28:29]
	;; [unrolled: 1-line block ×4, first 2 shown]
	s_waitcnt vmcnt(0)
	v_lshlrev_b32_e32 v20, 4, v20
	ds_store_b128 v20, v[0:3] offset:30000
	ds_store_b128 v20, v[16:19] offset:30400
	;; [unrolled: 1-line block ×5, first 2 shown]
.LBB0_29:
	s_or_b32 exec_lo, exec_lo, s16
	s_waitcnt lgkmcnt(0)
	s_barrier
	buffer_gl0_inv
	ds_load_b128 v[0:3], v88 offset:2000
	ds_load_b128 v[4:7], v88 offset:4000
	;; [unrolled: 1-line block ×15, first 2 shown]
	s_mov_b32 s0, 0x667f3bcd
	s_mov_b32 s1, 0xbfe6a09e
	;; [unrolled: 1-line block ×5, first 2 shown]
	s_waitcnt lgkmcnt(14)
	v_mul_f64 v[62:63], v[202:203], v[0:1]
	s_waitcnt lgkmcnt(13)
	v_mul_f64 v[64:65], v[198:199], v[6:7]
	;; [unrolled: 2-line block ×4, first 2 shown]
	v_mul_f64 v[74:75], v[190:191], v[12:13]
	s_waitcnt lgkmcnt(10)
	v_mul_f64 v[76:77], v[218:219], v[18:19]
	s_waitcnt lgkmcnt(9)
	v_mul_f64 v[80:81], v[214:215], v[22:23]
	v_mul_f64 v[82:83], v[214:215], v[20:21]
	s_waitcnt lgkmcnt(8)
	v_mul_f64 v[84:85], v[210:211], v[26:27]
	s_waitcnt lgkmcnt(7)
	v_mul_f64 v[89:90], v[206:207], v[30:31]
	s_waitcnt lgkmcnt(5)
	v_mul_f64 v[97:98], v[230:231], v[38:39]
	s_waitcnt lgkmcnt(3)
	v_mul_f64 v[93:94], v[226:227], v[46:47]
	v_mul_f64 v[95:96], v[226:227], v[44:45]
	s_waitcnt lgkmcnt(1)
	v_mul_f64 v[101:102], v[242:243], v[54:55]
	v_mul_f64 v[103:104], v[242:243], v[52:53]
	;; [unrolled: 1-line block ×5, first 2 shown]
	s_waitcnt lgkmcnt(0)
	v_mul_f64 v[119:120], v[238:239], v[58:59]
	v_mul_f64 v[60:61], v[202:203], v[2:3]
	;; [unrolled: 1-line block ×12, first 2 shown]
	s_mov_b32 s11, 0xbfed906b
	s_mov_b32 s17, 0x3fed906b
	;; [unrolled: 1-line block ×7, first 2 shown]
	v_fma_f64 v[62:63], v[200:201], v[2:3], -v[62:63]
	v_fma_f64 v[4:5], v[196:197], v[4:5], v[64:65]
	v_fma_f64 v[10:11], v[192:193], v[10:11], -v[70:71]
	v_fma_f64 v[12:13], v[188:189], v[12:13], v[72:73]
	;; [unrolled: 2-line block ×3, first 2 shown]
	v_fma_f64 v[20:21], v[212:213], v[20:21], v[80:81]
	v_fma_f64 v[22:23], v[212:213], v[22:23], -v[82:83]
	v_fma_f64 v[24:25], v[208:209], v[24:25], v[84:85]
	v_fma_f64 v[28:29], v[204:205], v[28:29], v[89:90]
	;; [unrolled: 1-line block ×4, first 2 shown]
	v_fma_f64 v[46:47], v[224:225], v[46:47], -v[95:96]
	v_fma_f64 v[52:53], v[240:241], v[52:53], v[101:102]
	v_fma_f64 v[54:55], v[240:241], v[54:55], -v[103:104]
	v_fma_f64 v[34:35], v[232:233], v[34:35], -v[107:108]
	v_fma_f64 v[48:49], v[244:245], v[48:49], v[109:110]
	v_fma_f64 v[42:43], v[220:221], v[42:43], -v[115:116]
	v_fma_f64 v[56:57], v[236:237], v[56:57], v[119:120]
	v_fma_f64 v[60:61], v[200:201], v[0:1], v[60:61]
	ds_load_b128 v[0:3], v88
	v_fma_f64 v[6:7], v[196:197], v[6:7], -v[66:67]
	v_fma_f64 v[8:9], v[192:193], v[8:9], v[68:69]
	v_fma_f64 v[18:19], v[216:217], v[18:19], -v[78:79]
	v_fma_f64 v[26:27], v[208:209], v[26:27], -v[86:87]
	;; [unrolled: 1-line block ×4, first 2 shown]
	v_fma_f64 v[32:33], v[232:233], v[32:33], v[105:106]
	v_fma_f64 v[50:51], v[244:245], v[50:51], -v[111:112]
	v_fma_f64 v[40:41], v[220:221], v[40:41], v[113:114]
	v_fma_f64 v[58:59], v[236:237], v[58:59], -v[117:118]
	scratch_load_b32 v98, off, off offset:240 ; 4-byte Folded Reload
	s_waitcnt lgkmcnt(0)
	v_add_f64 v[28:29], v[0:1], -v[28:29]
	v_add_f64 v[36:37], v[4:5], -v[36:37]
	;; [unrolled: 1-line block ×16, first 2 shown]
	v_fma_f64 v[0:1], v[0:1], 2.0, -v[28:29]
	v_fma_f64 v[4:5], v[4:5], 2.0, -v[36:37]
	;; [unrolled: 1-line block ×3, first 2 shown]
	v_add_f64 v[64:65], v[28:29], v[46:47]
	v_fma_f64 v[20:21], v[20:21], 2.0, -v[52:53]
	v_add_f64 v[68:69], v[36:37], v[54:55]
	v_fma_f64 v[14:15], v[14:15], 2.0, -v[46:47]
	v_add_f64 v[74:75], v[34:35], -v[48:49]
	v_fma_f64 v[46:47], v[62:63], 2.0, -v[34:35]
	v_add_f64 v[78:79], v[42:43], -v[56:57]
	v_fma_f64 v[16:17], v[16:17], 2.0, -v[48:49]
	v_fma_f64 v[10:11], v[10:11], 2.0, -v[42:43]
	;; [unrolled: 1-line block ×4, first 2 shown]
	v_add_f64 v[66:67], v[30:31], -v[44:45]
	v_add_f64 v[70:71], v[38:39], -v[52:53]
	v_fma_f64 v[2:3], v[2:3], 2.0, -v[30:31]
	v_add_f64 v[72:73], v[32:33], v[50:51]
	v_fma_f64 v[44:45], v[60:61], 2.0, -v[32:33]
	v_add_f64 v[76:77], v[40:41], v[58:59]
	v_fma_f64 v[26:27], v[26:27], 2.0, -v[58:59]
	v_fma_f64 v[6:7], v[6:7], 2.0, -v[38:39]
	;; [unrolled: 1-line block ×4, first 2 shown]
	v_add_f64 v[12:13], v[0:1], -v[12:13]
	v_fma_f64 v[28:29], v[28:29], 2.0, -v[64:65]
	v_add_f64 v[20:21], v[4:5], -v[20:21]
	v_fma_f64 v[36:37], v[36:37], 2.0, -v[68:69]
	v_fma_f64 v[48:49], v[68:69], s[2:3], v[64:65]
	v_fma_f64 v[34:35], v[34:35], 2.0, -v[74:75]
	v_fma_f64 v[42:43], v[42:43], 2.0, -v[78:79]
	v_fma_f64 v[54:55], v[78:79], s[2:3], v[74:75]
	v_fma_f64 v[30:31], v[30:31], 2.0, -v[66:67]
	v_fma_f64 v[38:39], v[38:39], 2.0, -v[70:71]
	v_add_f64 v[14:15], v[2:3], -v[14:15]
	v_fma_f64 v[32:33], v[32:33], 2.0, -v[72:73]
	v_add_f64 v[16:17], v[44:45], -v[16:17]
	;; [unrolled: 2-line block ×3, first 2 shown]
	v_fma_f64 v[50:51], v[70:71], s[2:3], v[66:67]
	v_add_f64 v[22:23], v[6:7], -v[22:23]
	v_add_f64 v[18:19], v[46:47], -v[18:19]
	;; [unrolled: 1-line block ×3, first 2 shown]
	v_fma_f64 v[52:53], v[76:77], s[2:3], v[72:73]
	v_fma_f64 v[0:1], v[0:1], 2.0, -v[12:13]
	v_fma_f64 v[4:5], v[4:5], 2.0, -v[20:21]
	v_fma_f64 v[56:57], v[36:37], s[0:1], v[28:29]
	v_fma_f64 v[48:49], v[70:71], s[2:3], v[48:49]
	;; [unrolled: 1-line block ×4, first 2 shown]
	v_add_f64 v[82:83], v[14:15], -v[20:21]
	v_fma_f64 v[2:3], v[2:3], 2.0, -v[14:15]
	v_fma_f64 v[44:45], v[44:45], 2.0, -v[16:17]
	v_fma_f64 v[60:61], v[40:41], s[0:1], v[32:33]
	v_fma_f64 v[10:11], v[10:11], 2.0, -v[26:27]
	v_add_f64 v[20:21], v[16:17], v[26:27]
	v_fma_f64 v[26:27], v[76:77], s[0:1], v[54:55]
	v_fma_f64 v[50:51], v[68:69], s[0:1], v[50:51]
	v_fma_f64 v[6:7], v[6:7], 2.0, -v[22:23]
	v_add_f64 v[80:81], v[12:13], v[22:23]
	v_fma_f64 v[8:9], v[8:9], 2.0, -v[24:25]
	v_add_f64 v[22:23], v[18:19], -v[24:25]
	v_fma_f64 v[46:47], v[46:47], 2.0, -v[18:19]
	v_fma_f64 v[24:25], v[78:79], s[2:3], v[52:53]
	v_fma_f64 v[56:57], v[38:39], s[2:3], v[56:57]
	;; [unrolled: 1-line block ×3, first 2 shown]
	v_add_f64 v[40:41], v[0:1], -v[4:5]
	v_fma_f64 v[58:59], v[36:37], s[0:1], v[58:59]
	v_fma_f64 v[54:55], v[14:15], 2.0, -v[82:83]
	v_fma_f64 v[36:37], v[42:43], s[2:3], v[60:61]
	v_fma_f64 v[60:61], v[64:65], 2.0, -v[48:49]
	v_fma_f64 v[64:65], v[16:17], 2.0, -v[20:21]
	;; [unrolled: 1-line block ×4, first 2 shown]
	v_add_f64 v[42:43], v[2:3], -v[6:7]
	v_fma_f64 v[52:53], v[12:13], 2.0, -v[80:81]
	v_add_f64 v[4:5], v[44:45], -v[8:9]
	v_fma_f64 v[16:17], v[18:19], 2.0, -v[22:23]
	;; [unrolled: 2-line block ×3, first 2 shown]
	v_fma_f64 v[8:9], v[20:21], s[2:3], v[80:81]
	v_fma_f64 v[10:11], v[22:23], s[2:3], v[82:83]
	;; [unrolled: 1-line block ×4, first 2 shown]
	v_fma_f64 v[70:71], v[28:29], 2.0, -v[56:57]
	v_fma_f64 v[28:29], v[34:35], 2.0, -v[38:39]
	;; [unrolled: 1-line block ×3, first 2 shown]
	scratch_load_b64 v[0:1], off, off offset:216 ; 8-byte Folded Reload
	v_fma_f64 v[72:73], v[30:31], 2.0, -v[58:59]
	v_fma_f64 v[86:87], v[38:39], s[12:13], v[58:59]
	v_fma_f64 v[30:31], v[32:33], 2.0, -v[36:37]
	v_fma_f64 v[84:85], v[36:37], s[12:13], v[56:57]
	v_fma_f64 v[78:79], v[68:69], s[14:15], v[62:63]
	v_fma_f64 v[76:77], v[2:3], 2.0, -v[42:43]
	v_fma_f64 v[34:35], v[64:65], s[0:1], v[52:53]
	v_fma_f64 v[18:19], v[44:45], 2.0, -v[4:5]
	;; [unrolled: 2-line block ×3, first 2 shown]
	v_fma_f64 v[46:47], v[66:67], s[14:15], v[60:61]
	v_add_f64 v[2:3], v[42:43], -v[4:5]
	v_fma_f64 v[4:5], v[22:23], s[2:3], v[8:9]
	v_fma_f64 v[8:9], v[26:27], s[12:13], v[12:13]
	;; [unrolled: 1-line block ×7, first 2 shown]
	v_add_f64 v[12:13], v[74:75], -v[18:19]
	v_fma_f64 v[18:19], v[64:65], s[0:1], v[44:45]
	s_mul_i32 s2, s4, 0x190
	v_fma_f64 v[30:31], v[30:31], s[14:15], v[91:92]
	v_fma_f64 v[58:59], v[58:59], 2.0, -v[26:27]
	v_fma_f64 v[28:29], v[28:29], s[12:13], v[89:90]
	v_fma_f64 v[44:45], v[74:75], 2.0, -v[12:13]
	s_waitcnt vmcnt(1)
	v_mad_u64_u32 v[95:96], null, s4, v98, 0
	s_waitcnt vmcnt(0)
	v_mov_b32_e32 v97, v0
	v_add_f64 v[0:1], v[40:41], v[6:7]
	v_fma_f64 v[6:7], v[20:21], s[0:1], v[10:11]
	v_fma_f64 v[10:11], v[24:25], s[14:15], v[14:15]
	;; [unrolled: 1-line block ×4, first 2 shown]
	v_mad_u64_u32 v[93:94], null, s6, v97, 0
	v_add_f64 v[14:15], v[76:77], -v[32:33]
	v_mov_b32_e32 v33, v96
	s_mul_i32 s0, s5, 0x190
	s_mul_hi_u32 s1, s4, 0x190
	s_mul_i32 s6, s4, 0xfffffa3d
	s_add_i32 s3, s1, s0
	s_delay_alu instid0(VALU_DEP_3) | instskip(SKIP_1) | instid1(VALU_DEP_1)
	v_mov_b32_e32 v32, v94
	s_lshl_b64 s[2:3], s[2:3], 4
	v_mad_u64_u32 v[34:35], null, s7, v97, v[32:33]
	s_mul_hi_u32 s7, s4, 0xfffffa3d
	s_delay_alu instid0(SALU_CYCLE_1) | instskip(NEXT) | instid1(VALU_DEP_1)
	s_sub_i32 s1, s7, s4
	v_mov_b32_e32 v94, v34
	v_mad_u64_u32 v[35:36], null, s5, v98, v[33:34]
	v_fma_f64 v[36:37], v[80:81], 2.0, -v[4:5]
	s_mulk_i32 s5, 0xfa3d
	s_delay_alu instid0(VALU_DEP_3) | instskip(SKIP_1) | instid1(SALU_CYCLE_1)
	v_lshlrev_b64 v[64:65], 4, v[93:94]
	s_add_i32 s7, s1, s5
	s_lshl_b64 s[4:5], s[6:7], 4
	s_delay_alu instid0(VALU_DEP_3) | instskip(SKIP_1) | instid1(VALU_DEP_3)
	v_mov_b32_e32 v96, v35
	v_fma_f64 v[34:35], v[42:43], 2.0, -v[2:3]
	v_add_co_u32 v64, s0, s8, v64
	v_fma_f64 v[38:39], v[82:83], 2.0, -v[6:7]
	v_fma_f64 v[32:33], v[40:41], 2.0, -v[0:1]
	v_fma_f64 v[40:41], v[48:49], 2.0, -v[8:9]
	v_fma_f64 v[42:43], v[50:51], 2.0, -v[10:11]
	v_fma_f64 v[48:49], v[52:53], 2.0, -v[16:17]
	v_fma_f64 v[50:51], v[54:55], 2.0, -v[18:19]
	v_fma_f64 v[52:53], v[60:61], 2.0, -v[20:21]
	v_fma_f64 v[54:55], v[62:63], 2.0, -v[22:23]
	v_fma_f64 v[56:57], v[56:57], 2.0, -v[24:25]
	v_fma_f64 v[46:47], v[76:77], 2.0, -v[14:15]
	v_fma_f64 v[60:61], v[70:71], 2.0, -v[28:29]
	v_fma_f64 v[62:63], v[72:73], 2.0, -v[30:31]
	v_lshlrev_b64 v[66:67], 4, v[95:96]
	v_add_co_ci_u32_e64 v65, s0, s9, v65, s0
	s_mov_b32 s6, 0xd2f1a9fc
	s_mov_b32 s7, 0x3f40624d
	ds_store_b128 v88, v[4:7] offset:28000
	ds_store_b128 v88, v[8:11] offset:30000
	ds_store_b128 v88, v[36:39] offset:12000
	ds_store_b128 v88, v[40:43] offset:14000
	ds_store_b128 v88, v[16:19] offset:20000
	ds_store_b128 v88, v[20:23] offset:22000
	ds_store_b128 v88, v[0:3] offset:24000
	ds_store_b128 v88, v[24:27] offset:26000
	ds_store_b128 v88, v[48:51] offset:4000
	ds_store_b128 v88, v[52:55] offset:6000
	ds_store_b128 v88, v[32:35] offset:8000
	ds_store_b128 v88, v[56:59] offset:10000
	ds_store_b128 v88, v[12:15] offset:16000
	ds_store_b128 v88, v[28:31] offset:18000
	ds_store_b128 v88, v[44:47]
	ds_store_b128 v88, v[60:63] offset:2000
	s_waitcnt lgkmcnt(0)
	s_barrier
	buffer_gl0_inv
	ds_load_b128 v[0:3], v88
	ds_load_b128 v[4:7], v88 offset:6400
	ds_load_b128 v[8:11], v88 offset:12800
	;; [unrolled: 1-line block ×14, first 2 shown]
	s_clause 0x5
	scratch_load_b128 v[165:168], off, off offset:184
	scratch_load_b128 v[159:162], off, off offset:152
	scratch_load_b128 v[155:158], off, off offset:136
	scratch_load_b128 v[137:140], off, off offset:8
	scratch_load_b128 v[145:148], off, off offset:88
	scratch_load_b128 v[151:154], off, off offset:120
	v_add_co_u32 v64, s0, v64, v66
	s_delay_alu instid0(VALU_DEP_1) | instskip(NEXT) | instid1(VALU_DEP_2)
	v_add_co_ci_u32_e64 v65, s0, v65, v67, s0
	v_add_co_u32 v66, s0, v64, s2
	s_delay_alu instid0(VALU_DEP_1) | instskip(NEXT) | instid1(VALU_DEP_2)
	v_add_co_ci_u32_e64 v67, s0, s3, v65, s0
	;; [unrolled: 3-line block ×7, first 2 shown]
	v_add_co_u32 v135, s0, v133, s2
	s_delay_alu instid0(VALU_DEP_1)
	v_add_co_ci_u32_e64 v136, s0, s3, v134, s0
	s_waitcnt vmcnt(4) lgkmcnt(12)
	v_mul_f64 v[80:81], v[161:162], v[10:11]
	v_mul_f64 v[82:83], v[161:162], v[8:9]
	scratch_load_b128 v[161:164], off, off offset:168 ; 16-byte Folded Reload
	v_mul_f64 v[76:77], v[167:168], v[6:7]
	v_mul_f64 v[78:79], v[167:168], v[4:5]
	scratch_load_b128 v[167:170], off, off offset:200 ; 16-byte Folded Reload
	s_waitcnt vmcnt(4)
	v_mul_f64 v[60:61], v[139:140], v[2:3]
	v_mul_f64 v[74:75], v[139:140], v[0:1]
	scratch_load_b128 v[139:142], off, off offset:40 ; 16-byte Folded Reload
	s_waitcnt vmcnt(4) lgkmcnt(6)
	v_mul_f64 v[105:106], v[147:148], v[34:35]
	v_mul_f64 v[107:108], v[147:148], v[32:33]
	scratch_load_b128 v[147:150], off, off offset:104 ; 16-byte Folded Reload
	v_mul_f64 v[89:90], v[157:158], v[18:19]
	v_mul_f64 v[91:92], v[157:158], v[16:17]
	v_fma_f64 v[0:1], v[137:138], v[0:1], v[60:61]
	v_fma_f64 v[60:61], v[137:138], v[2:3], -v[74:75]
	v_fma_f64 v[74:75], v[165:166], v[4:5], v[76:77]
	v_fma_f64 v[76:77], v[165:166], v[6:7], -v[78:79]
	;; [unrolled: 2-line block ×3, first 2 shown]
	v_mul_f64 v[2:3], v[0:1], s[6:7]
	v_mul_f64 v[4:5], v[60:61], s[6:7]
	;; [unrolled: 1-line block ×5, first 2 shown]
	s_waitcnt vmcnt(3)
	v_mul_f64 v[84:85], v[163:164], v[14:15]
	v_mul_f64 v[86:87], v[163:164], v[12:13]
	s_waitcnt vmcnt(2)
	v_mul_f64 v[97:98], v[169:170], v[26:27]
	v_mul_f64 v[99:100], v[169:170], v[24:25]
	scratch_load_b128 v[169:172], off, off offset:224 ; 16-byte Folded Reload
	s_waitcnt vmcnt(2)
	v_mul_f64 v[93:94], v[141:142], v[22:23]
	v_mul_f64 v[95:96], v[141:142], v[20:21]
	scratch_load_b128 v[141:144], off, off offset:72 ; 16-byte Folded Reload
	v_mul_f64 v[101:102], v[153:154], v[30:31]
	v_mul_f64 v[103:104], v[153:154], v[28:29]
	s_waitcnt vmcnt(2) lgkmcnt(5)
	v_mul_f64 v[109:110], v[149:150], v[38:39]
	v_mul_f64 v[111:112], v[149:150], v[36:37]
	v_fma_f64 v[82:83], v[161:162], v[12:13], v[84:85]
	v_fma_f64 v[84:85], v[161:162], v[14:15], -v[86:87]
	v_fma_f64 v[86:87], v[155:156], v[16:17], v[89:90]
	v_fma_f64 v[89:90], v[155:156], v[18:19], -v[91:92]
	v_mul_f64 v[12:13], v[80:81], s[6:7]
	v_fma_f64 v[91:92], v[139:140], v[20:21], v[93:94]
	v_fma_f64 v[93:94], v[139:140], v[22:23], -v[95:96]
	v_fma_f64 v[95:96], v[167:168], v[24:25], v[97:98]
	v_fma_f64 v[97:98], v[167:168], v[26:27], -v[99:100]
	;; [unrolled: 2-line block ×5, first 2 shown]
	v_mul_f64 v[14:15], v[82:83], s[6:7]
	v_mul_f64 v[16:17], v[84:85], s[6:7]
	;; [unrolled: 1-line block ×13, first 2 shown]
	s_waitcnt vmcnt(1) lgkmcnt(3)
	v_mul_f64 v[117:118], v[171:172], v[46:47]
	v_mul_f64 v[119:120], v[171:172], v[44:45]
	scratch_load_b128 v[171:174], off, off offset:244 ; 16-byte Folded Reload
	s_waitcnt vmcnt(1)
	v_mul_f64 v[113:114], v[143:144], v[42:43]
	v_mul_f64 v[115:116], v[143:144], v[40:41]
	s_delay_alu instid0(VALU_DEP_2) | instskip(NEXT) | instid1(VALU_DEP_2)
	v_fma_f64 v[111:112], v[141:142], v[40:41], v[113:114]
	v_fma_f64 v[113:114], v[141:142], v[42:43], -v[115:116]
	v_fma_f64 v[115:116], v[169:170], v[44:45], v[117:118]
	v_fma_f64 v[117:118], v[169:170], v[46:47], -v[119:120]
	v_mul_f64 v[40:41], v[109:110], s[6:7]
	v_mul_f64 v[42:43], v[111:112], s[6:7]
	;; [unrolled: 1-line block ×4, first 2 shown]
	s_waitcnt vmcnt(0) lgkmcnt(2)
	v_mul_f64 v[121:122], v[173:174], v[50:51]
	v_mul_f64 v[123:124], v[173:174], v[48:49]
	scratch_load_b128 v[173:176], off, off offset:260 ; 16-byte Folded Reload
	v_fma_f64 v[119:120], v[171:172], v[48:49], v[121:122]
	v_fma_f64 v[121:122], v[171:172], v[50:51], -v[123:124]
	v_mul_f64 v[48:49], v[117:118], s[6:7]
	s_delay_alu instid0(VALU_DEP_3)
	v_mul_f64 v[50:51], v[119:120], s[6:7]
	s_waitcnt vmcnt(0) lgkmcnt(1)
	v_mul_f64 v[125:126], v[175:176], v[54:55]
	v_mul_f64 v[127:128], v[175:176], v[52:53]
	scratch_load_b128 v[175:178], off, off offset:276 ; 16-byte Folded Reload
	v_fma_f64 v[123:124], v[173:174], v[52:53], v[125:126]
	v_fma_f64 v[125:126], v[173:174], v[54:55], -v[127:128]
	v_mul_f64 v[52:53], v[121:122], s[6:7]
	s_delay_alu instid0(VALU_DEP_3) | instskip(SKIP_3) | instid1(VALU_DEP_2)
	v_mul_f64 v[54:55], v[123:124], s[6:7]
	s_waitcnt vmcnt(0) lgkmcnt(0)
	v_mul_f64 v[129:130], v[177:178], v[58:59]
	v_mul_f64 v[131:132], v[177:178], v[56:57]
	v_fma_f64 v[127:128], v[175:176], v[56:57], v[129:130]
	s_delay_alu instid0(VALU_DEP_2) | instskip(SKIP_1) | instid1(VALU_DEP_1)
	v_fma_f64 v[129:130], v[175:176], v[58:59], -v[131:132]
	v_add_co_u32 v131, s0, v135, s2
	v_add_co_ci_u32_e64 v132, s0, s3, v136, s0
	v_mul_f64 v[56:57], v[125:126], s[6:7]
	s_delay_alu instid0(VALU_DEP_3) | instskip(NEXT) | instid1(VALU_DEP_1)
	v_add_co_u32 v137, s0, v131, s2
	v_add_co_ci_u32_e64 v138, s0, s3, v132, s0
	s_delay_alu instid0(VALU_DEP_2) | instskip(NEXT) | instid1(VALU_DEP_1)
	v_add_co_u32 v74, s0, v137, s4
	v_add_co_ci_u32_e64 v75, s0, s5, v138, s0
	s_delay_alu instid0(VALU_DEP_2) | instskip(NEXT) | instid1(VALU_DEP_1)
	;; [unrolled: 3-line block ×5, first 2 shown]
	v_add_co_u32 v0, s0, v80, s2
	v_add_co_ci_u32_e64 v1, s0, s3, v81, s0
	v_mul_f64 v[58:59], v[127:128], s[6:7]
	v_mul_f64 v[60:61], v[129:130], s[6:7]
	s_clause 0x4
	global_store_b128 v[64:65], v[2:5], off
	global_store_b128 v[66:67], v[6:9], off
	;; [unrolled: 1-line block ×15, first 2 shown]
	s_and_b32 exec_lo, exec_lo, vcc_lo
	s_cbranch_execz .LBB0_31
; %bb.30:
	scratch_load_b64 v[2:3], off, off offset:64 ; 8-byte Folded Reload
	s_waitcnt vmcnt(0)
	global_load_b128 v[2:5], v[2:3], off offset:1904
	ds_load_b128 v[6:9], v88 offset:6000
	ds_load_b128 v[10:13], v88 offset:12400
	s_waitcnt vmcnt(0) lgkmcnt(1)
	v_mul_f64 v[14:15], v[8:9], v[4:5]
	v_mul_f64 v[4:5], v[6:7], v[4:5]
	s_delay_alu instid0(VALU_DEP_2) | instskip(NEXT) | instid1(VALU_DEP_2)
	v_fma_f64 v[6:7], v[6:7], v[2:3], v[14:15]
	v_fma_f64 v[4:5], v[2:3], v[8:9], -v[4:5]
	s_delay_alu instid0(VALU_DEP_2)
	v_mul_f64 v[2:3], v[6:7], s[6:7]
	v_add_co_u32 v6, vcc_lo, v0, s4
	v_add_co_ci_u32_e32 v7, vcc_lo, s5, v1, vcc_lo
	scratch_load_b64 v[0:1], off, off offset:56 ; 8-byte Folded Reload
	v_mul_f64 v[4:5], v[4:5], s[6:7]
	global_store_b128 v[6:7], v[2:5], off
	s_waitcnt vmcnt(0)
	global_load_b128 v[0:3], v[0:1], off offset:112
	s_waitcnt vmcnt(0) lgkmcnt(0)
	v_mul_f64 v[4:5], v[12:13], v[2:3]
	v_mul_f64 v[2:3], v[10:11], v[2:3]
	s_delay_alu instid0(VALU_DEP_2) | instskip(NEXT) | instid1(VALU_DEP_2)
	v_fma_f64 v[4:5], v[10:11], v[0:1], v[4:5]
	v_fma_f64 v[2:3], v[0:1], v[12:13], -v[2:3]
	v_add_co_u32 v12, vcc_lo, v6, s2
	v_add_co_ci_u32_e32 v13, vcc_lo, s3, v7, vcc_lo
	s_delay_alu instid0(VALU_DEP_4) | instskip(NEXT) | instid1(VALU_DEP_4)
	v_mul_f64 v[0:1], v[4:5], s[6:7]
	v_mul_f64 v[2:3], v[2:3], s[6:7]
	global_store_b128 v[12:13], v[0:3], off
	scratch_load_b64 v[0:1], off, off offset:32 ; 8-byte Folded Reload
	s_waitcnt vmcnt(0)
	global_load_b128 v[0:3], v[0:1], off offset:2416
	ds_load_b128 v[4:7], v88 offset:18800
	ds_load_b128 v[8:11], v88 offset:25200
	s_waitcnt vmcnt(0) lgkmcnt(1)
	v_mul_f64 v[14:15], v[6:7], v[2:3]
	v_mul_f64 v[2:3], v[4:5], v[2:3]
	s_delay_alu instid0(VALU_DEP_2) | instskip(NEXT) | instid1(VALU_DEP_2)
	v_fma_f64 v[4:5], v[4:5], v[0:1], v[14:15]
	v_fma_f64 v[2:3], v[0:1], v[6:7], -v[2:3]
	s_delay_alu instid0(VALU_DEP_2) | instskip(NEXT) | instid1(VALU_DEP_2)
	v_mul_f64 v[0:1], v[4:5], s[6:7]
	v_mul_f64 v[2:3], v[2:3], s[6:7]
	v_add_co_u32 v4, vcc_lo, v12, s2
	v_add_co_ci_u32_e32 v5, vcc_lo, s3, v13, vcc_lo
	global_store_b128 v[4:5], v[0:3], off
	scratch_load_b64 v[0:1], off, off offset:24 ; 8-byte Folded Reload
	s_waitcnt vmcnt(0)
	global_load_b128 v[0:3], v[0:1], off offset:624
	s_waitcnt vmcnt(0) lgkmcnt(0)
	v_mul_f64 v[6:7], v[10:11], v[2:3]
	v_mul_f64 v[2:3], v[8:9], v[2:3]
	s_delay_alu instid0(VALU_DEP_2) | instskip(NEXT) | instid1(VALU_DEP_2)
	v_fma_f64 v[6:7], v[8:9], v[0:1], v[6:7]
	v_fma_f64 v[2:3], v[0:1], v[10:11], -v[2:3]
	v_add_co_u32 v8, vcc_lo, v4, s2
	v_add_co_ci_u32_e32 v9, vcc_lo, s3, v5, vcc_lo
	s_delay_alu instid0(VALU_DEP_4) | instskip(NEXT) | instid1(VALU_DEP_4)
	v_mul_f64 v[0:1], v[6:7], s[6:7]
	v_mul_f64 v[2:3], v[2:3], s[6:7]
	ds_load_b128 v[4:7], v88 offset:31600
	global_store_b128 v[8:9], v[0:3], off
	scratch_load_b64 v[0:1], off, off       ; 8-byte Folded Reload
	s_waitcnt vmcnt(0)
	global_load_b128 v[0:3], v[0:1], off offset:2928
	s_waitcnt vmcnt(0) lgkmcnt(0)
	v_mul_f64 v[10:11], v[6:7], v[2:3]
	v_mul_f64 v[2:3], v[4:5], v[2:3]
	s_delay_alu instid0(VALU_DEP_2) | instskip(NEXT) | instid1(VALU_DEP_2)
	v_fma_f64 v[4:5], v[4:5], v[0:1], v[10:11]
	v_fma_f64 v[2:3], v[0:1], v[6:7], -v[2:3]
	s_delay_alu instid0(VALU_DEP_2) | instskip(NEXT) | instid1(VALU_DEP_2)
	v_mul_f64 v[0:1], v[4:5], s[6:7]
	v_mul_f64 v[2:3], v[2:3], s[6:7]
	v_add_co_u32 v4, vcc_lo, v8, s2
	v_add_co_ci_u32_e32 v5, vcc_lo, s3, v9, vcc_lo
	global_store_b128 v[4:5], v[0:3], off
.LBB0_31:
	s_nop 0
	s_sendmsg sendmsg(MSG_DEALLOC_VGPRS)
	s_endpgm
	.section	.rodata,"a",@progbits
	.p2align	6, 0x0
	.amdhsa_kernel bluestein_single_back_len2000_dim1_dp_op_CI_CI
		.amdhsa_group_segment_fixed_size 32000
		.amdhsa_private_segment_fixed_size 484
		.amdhsa_kernarg_size 104
		.amdhsa_user_sgpr_count 15
		.amdhsa_user_sgpr_dispatch_ptr 0
		.amdhsa_user_sgpr_queue_ptr 0
		.amdhsa_user_sgpr_kernarg_segment_ptr 1
		.amdhsa_user_sgpr_dispatch_id 0
		.amdhsa_user_sgpr_private_segment_size 0
		.amdhsa_wavefront_size32 1
		.amdhsa_uses_dynamic_stack 0
		.amdhsa_enable_private_segment 1
		.amdhsa_system_sgpr_workgroup_id_x 1
		.amdhsa_system_sgpr_workgroup_id_y 0
		.amdhsa_system_sgpr_workgroup_id_z 0
		.amdhsa_system_sgpr_workgroup_info 0
		.amdhsa_system_vgpr_workitem_id 0
		.amdhsa_next_free_vgpr 256
		.amdhsa_next_free_sgpr 18
		.amdhsa_reserve_vcc 1
		.amdhsa_float_round_mode_32 0
		.amdhsa_float_round_mode_16_64 0
		.amdhsa_float_denorm_mode_32 3
		.amdhsa_float_denorm_mode_16_64 3
		.amdhsa_dx10_clamp 1
		.amdhsa_ieee_mode 1
		.amdhsa_fp16_overflow 0
		.amdhsa_workgroup_processor_mode 1
		.amdhsa_memory_ordered 1
		.amdhsa_forward_progress 0
		.amdhsa_shared_vgpr_count 0
		.amdhsa_exception_fp_ieee_invalid_op 0
		.amdhsa_exception_fp_denorm_src 0
		.amdhsa_exception_fp_ieee_div_zero 0
		.amdhsa_exception_fp_ieee_overflow 0
		.amdhsa_exception_fp_ieee_underflow 0
		.amdhsa_exception_fp_ieee_inexact 0
		.amdhsa_exception_int_div_zero 0
	.end_amdhsa_kernel
	.text
.Lfunc_end0:
	.size	bluestein_single_back_len2000_dim1_dp_op_CI_CI, .Lfunc_end0-bluestein_single_back_len2000_dim1_dp_op_CI_CI
                                        ; -- End function
	.section	.AMDGPU.csdata,"",@progbits
; Kernel info:
; codeLenInByte = 28852
; NumSgprs: 20
; NumVgprs: 256
; ScratchSize: 484
; MemoryBound: 0
; FloatMode: 240
; IeeeMode: 1
; LDSByteSize: 32000 bytes/workgroup (compile time only)
; SGPRBlocks: 2
; VGPRBlocks: 31
; NumSGPRsForWavesPerEU: 20
; NumVGPRsForWavesPerEU: 256
; Occupancy: 4
; WaveLimiterHint : 1
; COMPUTE_PGM_RSRC2:SCRATCH_EN: 1
; COMPUTE_PGM_RSRC2:USER_SGPR: 15
; COMPUTE_PGM_RSRC2:TRAP_HANDLER: 0
; COMPUTE_PGM_RSRC2:TGID_X_EN: 1
; COMPUTE_PGM_RSRC2:TGID_Y_EN: 0
; COMPUTE_PGM_RSRC2:TGID_Z_EN: 0
; COMPUTE_PGM_RSRC2:TIDIG_COMP_CNT: 0
	.text
	.p2alignl 7, 3214868480
	.fill 96, 4, 3214868480
	.type	__hip_cuid_7a8329d5b6fabbca,@object ; @__hip_cuid_7a8329d5b6fabbca
	.section	.bss,"aw",@nobits
	.globl	__hip_cuid_7a8329d5b6fabbca
__hip_cuid_7a8329d5b6fabbca:
	.byte	0                               ; 0x0
	.size	__hip_cuid_7a8329d5b6fabbca, 1

	.ident	"AMD clang version 19.0.0git (https://github.com/RadeonOpenCompute/llvm-project roc-6.4.0 25133 c7fe45cf4b819c5991fe208aaa96edf142730f1d)"
	.section	".note.GNU-stack","",@progbits
	.addrsig
	.addrsig_sym __hip_cuid_7a8329d5b6fabbca
	.amdgpu_metadata
---
amdhsa.kernels:
  - .args:
      - .actual_access:  read_only
        .address_space:  global
        .offset:         0
        .size:           8
        .value_kind:     global_buffer
      - .actual_access:  read_only
        .address_space:  global
        .offset:         8
        .size:           8
        .value_kind:     global_buffer
      - .actual_access:  read_only
        .address_space:  global
        .offset:         16
        .size:           8
        .value_kind:     global_buffer
      - .actual_access:  read_only
        .address_space:  global
        .offset:         24
        .size:           8
        .value_kind:     global_buffer
      - .actual_access:  read_only
        .address_space:  global
        .offset:         32
        .size:           8
        .value_kind:     global_buffer
      - .offset:         40
        .size:           8
        .value_kind:     by_value
      - .address_space:  global
        .offset:         48
        .size:           8
        .value_kind:     global_buffer
      - .address_space:  global
        .offset:         56
        .size:           8
        .value_kind:     global_buffer
      - .address_space:  global
        .offset:         64
        .size:           8
        .value_kind:     global_buffer
      - .address_space:  global
        .offset:         72
        .size:           8
        .value_kind:     global_buffer
      - .offset:         80
        .size:           4
        .value_kind:     by_value
      - .address_space:  global
        .offset:         88
        .size:           8
        .value_kind:     global_buffer
      - .address_space:  global
        .offset:         96
        .size:           8
        .value_kind:     global_buffer
    .group_segment_fixed_size: 32000
    .kernarg_segment_align: 8
    .kernarg_segment_size: 104
    .language:       OpenCL C
    .language_version:
      - 2
      - 0
    .max_flat_workgroup_size: 125
    .name:           bluestein_single_back_len2000_dim1_dp_op_CI_CI
    .private_segment_fixed_size: 484
    .sgpr_count:     20
    .sgpr_spill_count: 0
    .symbol:         bluestein_single_back_len2000_dim1_dp_op_CI_CI.kd
    .uniform_work_group_size: 1
    .uses_dynamic_stack: false
    .vgpr_count:     256
    .vgpr_spill_count: 120
    .wavefront_size: 32
    .workgroup_processor_mode: 1
amdhsa.target:   amdgcn-amd-amdhsa--gfx1100
amdhsa.version:
  - 1
  - 2
...

	.end_amdgpu_metadata
